;; amdgpu-corpus repo=ROCm/rocFFT kind=compiled arch=gfx1030 opt=O3
	.text
	.amdgcn_target "amdgcn-amd-amdhsa--gfx1030"
	.amdhsa_code_object_version 6
	.protected	fft_rtc_back_len2023_factors_17_7_17_wgs_119_tpt_119_halfLds_sp_ip_CI_unitstride_sbrr_dirReg ; -- Begin function fft_rtc_back_len2023_factors_17_7_17_wgs_119_tpt_119_halfLds_sp_ip_CI_unitstride_sbrr_dirReg
	.globl	fft_rtc_back_len2023_factors_17_7_17_wgs_119_tpt_119_halfLds_sp_ip_CI_unitstride_sbrr_dirReg
	.p2align	8
	.type	fft_rtc_back_len2023_factors_17_7_17_wgs_119_tpt_119_halfLds_sp_ip_CI_unitstride_sbrr_dirReg,@function
fft_rtc_back_len2023_factors_17_7_17_wgs_119_tpt_119_halfLds_sp_ip_CI_unitstride_sbrr_dirReg: ; @fft_rtc_back_len2023_factors_17_7_17_wgs_119_tpt_119_halfLds_sp_ip_CI_unitstride_sbrr_dirReg
; %bb.0:
	s_clause 0x2
	s_load_dwordx4 s[8:11], s[4:5], 0x0
	s_load_dwordx2 s[2:3], s[4:5], 0x50
	s_load_dwordx2 s[12:13], s[4:5], 0x18
	v_mul_u32_u24_e32 v1, 0x227, v0
	v_mov_b32_e32 v3, 0
	v_add_nc_u32_sdwa v5, s6, v1 dst_sel:DWORD dst_unused:UNUSED_PAD src0_sel:DWORD src1_sel:WORD_1
	v_mov_b32_e32 v1, 0
	v_mov_b32_e32 v6, v3
	v_mov_b32_e32 v2, 0
	s_waitcnt lgkmcnt(0)
	v_cmp_lt_u64_e64 s0, s[10:11], 2
	s_and_b32 vcc_lo, exec_lo, s0
	s_cbranch_vccnz .LBB0_8
; %bb.1:
	s_load_dwordx2 s[0:1], s[4:5], 0x10
	v_mov_b32_e32 v1, 0
	s_add_u32 s6, s12, 8
	v_mov_b32_e32 v2, 0
	s_addc_u32 s7, s13, 0
	s_mov_b64 s[16:17], 1
	s_waitcnt lgkmcnt(0)
	s_add_u32 s14, s0, 8
	s_addc_u32 s15, s1, 0
.LBB0_2:                                ; =>This Inner Loop Header: Depth=1
	s_load_dwordx2 s[18:19], s[14:15], 0x0
                                        ; implicit-def: $vgpr7_vgpr8
	s_mov_b32 s0, exec_lo
	s_waitcnt lgkmcnt(0)
	v_or_b32_e32 v4, s19, v6
	v_cmpx_ne_u64_e32 0, v[3:4]
	s_xor_b32 s1, exec_lo, s0
	s_cbranch_execz .LBB0_4
; %bb.3:                                ;   in Loop: Header=BB0_2 Depth=1
	v_cvt_f32_u32_e32 v4, s18
	v_cvt_f32_u32_e32 v7, s19
	s_sub_u32 s0, 0, s18
	s_subb_u32 s20, 0, s19
	v_fmac_f32_e32 v4, 0x4f800000, v7
	v_rcp_f32_e32 v4, v4
	v_mul_f32_e32 v4, 0x5f7ffffc, v4
	v_mul_f32_e32 v7, 0x2f800000, v4
	v_trunc_f32_e32 v7, v7
	v_fmac_f32_e32 v4, 0xcf800000, v7
	v_cvt_u32_f32_e32 v7, v7
	v_cvt_u32_f32_e32 v4, v4
	v_mul_lo_u32 v8, s0, v7
	v_mul_hi_u32 v9, s0, v4
	v_mul_lo_u32 v10, s20, v4
	v_add_nc_u32_e32 v8, v9, v8
	v_mul_lo_u32 v9, s0, v4
	v_add_nc_u32_e32 v8, v8, v10
	v_mul_hi_u32 v10, v4, v9
	v_mul_lo_u32 v11, v4, v8
	v_mul_hi_u32 v12, v4, v8
	v_mul_hi_u32 v13, v7, v9
	v_mul_lo_u32 v9, v7, v9
	v_mul_hi_u32 v14, v7, v8
	v_mul_lo_u32 v8, v7, v8
	v_add_co_u32 v10, vcc_lo, v10, v11
	v_add_co_ci_u32_e32 v11, vcc_lo, 0, v12, vcc_lo
	v_add_co_u32 v9, vcc_lo, v10, v9
	v_add_co_ci_u32_e32 v9, vcc_lo, v11, v13, vcc_lo
	v_add_co_ci_u32_e32 v10, vcc_lo, 0, v14, vcc_lo
	v_add_co_u32 v8, vcc_lo, v9, v8
	v_add_co_ci_u32_e32 v9, vcc_lo, 0, v10, vcc_lo
	v_add_co_u32 v4, vcc_lo, v4, v8
	v_add_co_ci_u32_e32 v7, vcc_lo, v7, v9, vcc_lo
	v_mul_hi_u32 v8, s0, v4
	v_mul_lo_u32 v10, s20, v4
	v_mul_lo_u32 v9, s0, v7
	v_add_nc_u32_e32 v8, v8, v9
	v_mul_lo_u32 v9, s0, v4
	v_add_nc_u32_e32 v8, v8, v10
	v_mul_hi_u32 v10, v4, v9
	v_mul_lo_u32 v11, v4, v8
	v_mul_hi_u32 v12, v4, v8
	v_mul_hi_u32 v13, v7, v9
	v_mul_lo_u32 v9, v7, v9
	v_mul_hi_u32 v14, v7, v8
	v_mul_lo_u32 v8, v7, v8
	v_add_co_u32 v10, vcc_lo, v10, v11
	v_add_co_ci_u32_e32 v11, vcc_lo, 0, v12, vcc_lo
	v_add_co_u32 v9, vcc_lo, v10, v9
	v_add_co_ci_u32_e32 v9, vcc_lo, v11, v13, vcc_lo
	v_add_co_ci_u32_e32 v10, vcc_lo, 0, v14, vcc_lo
	v_add_co_u32 v8, vcc_lo, v9, v8
	v_add_co_ci_u32_e32 v9, vcc_lo, 0, v10, vcc_lo
	v_add_co_u32 v4, vcc_lo, v4, v8
	v_add_co_ci_u32_e32 v11, vcc_lo, v7, v9, vcc_lo
	v_mul_hi_u32 v13, v5, v4
	v_mad_u64_u32 v[9:10], null, v6, v4, 0
	v_mad_u64_u32 v[7:8], null, v5, v11, 0
	;; [unrolled: 1-line block ×3, first 2 shown]
	v_add_co_u32 v4, vcc_lo, v13, v7
	v_add_co_ci_u32_e32 v7, vcc_lo, 0, v8, vcc_lo
	v_add_co_u32 v4, vcc_lo, v4, v9
	v_add_co_ci_u32_e32 v4, vcc_lo, v7, v10, vcc_lo
	v_add_co_ci_u32_e32 v7, vcc_lo, 0, v12, vcc_lo
	v_add_co_u32 v4, vcc_lo, v4, v11
	v_add_co_ci_u32_e32 v9, vcc_lo, 0, v7, vcc_lo
	v_mul_lo_u32 v10, s19, v4
	v_mad_u64_u32 v[7:8], null, s18, v4, 0
	v_mul_lo_u32 v11, s18, v9
	v_sub_co_u32 v7, vcc_lo, v5, v7
	v_add3_u32 v8, v8, v11, v10
	v_sub_nc_u32_e32 v10, v6, v8
	v_subrev_co_ci_u32_e64 v10, s0, s19, v10, vcc_lo
	v_add_co_u32 v11, s0, v4, 2
	v_add_co_ci_u32_e64 v12, s0, 0, v9, s0
	v_sub_co_u32 v13, s0, v7, s18
	v_sub_co_ci_u32_e32 v8, vcc_lo, v6, v8, vcc_lo
	v_subrev_co_ci_u32_e64 v10, s0, 0, v10, s0
	v_cmp_le_u32_e32 vcc_lo, s18, v13
	v_cmp_eq_u32_e64 s0, s19, v8
	v_cndmask_b32_e64 v13, 0, -1, vcc_lo
	v_cmp_le_u32_e32 vcc_lo, s19, v10
	v_cndmask_b32_e64 v14, 0, -1, vcc_lo
	v_cmp_le_u32_e32 vcc_lo, s18, v7
	;; [unrolled: 2-line block ×3, first 2 shown]
	v_cndmask_b32_e64 v15, 0, -1, vcc_lo
	v_cmp_eq_u32_e32 vcc_lo, s19, v10
	v_cndmask_b32_e64 v7, v15, v7, s0
	v_cndmask_b32_e32 v10, v14, v13, vcc_lo
	v_add_co_u32 v13, vcc_lo, v4, 1
	v_add_co_ci_u32_e32 v14, vcc_lo, 0, v9, vcc_lo
	v_cmp_ne_u32_e32 vcc_lo, 0, v10
	v_cndmask_b32_e32 v8, v14, v12, vcc_lo
	v_cndmask_b32_e32 v10, v13, v11, vcc_lo
	v_cmp_ne_u32_e32 vcc_lo, 0, v7
	v_cndmask_b32_e32 v8, v9, v8, vcc_lo
	v_cndmask_b32_e32 v7, v4, v10, vcc_lo
.LBB0_4:                                ;   in Loop: Header=BB0_2 Depth=1
	s_andn2_saveexec_b32 s0, s1
	s_cbranch_execz .LBB0_6
; %bb.5:                                ;   in Loop: Header=BB0_2 Depth=1
	v_cvt_f32_u32_e32 v4, s18
	s_sub_i32 s1, 0, s18
	v_rcp_iflag_f32_e32 v4, v4
	v_mul_f32_e32 v4, 0x4f7ffffe, v4
	v_cvt_u32_f32_e32 v4, v4
	v_mul_lo_u32 v7, s1, v4
	v_mul_hi_u32 v7, v4, v7
	v_add_nc_u32_e32 v4, v4, v7
	v_mul_hi_u32 v4, v5, v4
	v_mul_lo_u32 v7, v4, s18
	v_add_nc_u32_e32 v8, 1, v4
	v_sub_nc_u32_e32 v7, v5, v7
	v_subrev_nc_u32_e32 v9, s18, v7
	v_cmp_le_u32_e32 vcc_lo, s18, v7
	v_cndmask_b32_e32 v7, v7, v9, vcc_lo
	v_cndmask_b32_e32 v4, v4, v8, vcc_lo
	v_cmp_le_u32_e32 vcc_lo, s18, v7
	v_add_nc_u32_e32 v8, 1, v4
	v_cndmask_b32_e32 v7, v4, v8, vcc_lo
	v_mov_b32_e32 v8, v3
.LBB0_6:                                ;   in Loop: Header=BB0_2 Depth=1
	s_or_b32 exec_lo, exec_lo, s0
	s_load_dwordx2 s[0:1], s[6:7], 0x0
	v_mul_lo_u32 v4, v8, s18
	v_mul_lo_u32 v11, v7, s19
	v_mad_u64_u32 v[9:10], null, v7, s18, 0
	s_add_u32 s16, s16, 1
	s_addc_u32 s17, s17, 0
	s_add_u32 s6, s6, 8
	s_addc_u32 s7, s7, 0
	;; [unrolled: 2-line block ×3, first 2 shown]
	v_add3_u32 v4, v10, v11, v4
	v_sub_co_u32 v5, vcc_lo, v5, v9
	v_sub_co_ci_u32_e32 v4, vcc_lo, v6, v4, vcc_lo
	s_waitcnt lgkmcnt(0)
	v_mul_lo_u32 v6, s1, v5
	v_mul_lo_u32 v4, s0, v4
	v_mad_u64_u32 v[1:2], null, s0, v5, v[1:2]
	v_cmp_ge_u64_e64 s0, s[16:17], s[10:11]
	s_and_b32 vcc_lo, exec_lo, s0
	v_add3_u32 v2, v6, v2, v4
	s_cbranch_vccnz .LBB0_9
; %bb.7:                                ;   in Loop: Header=BB0_2 Depth=1
	v_mov_b32_e32 v5, v7
	v_mov_b32_e32 v6, v8
	s_branch .LBB0_2
.LBB0_8:
	v_mov_b32_e32 v8, v6
	v_mov_b32_e32 v7, v5
.LBB0_9:
	s_lshl_b64 s[0:1], s[10:11], 3
	v_mul_hi_u32 v3, 0x226b903, v0
	s_add_u32 s0, s12, s0
	s_addc_u32 s1, s13, s1
                                        ; implicit-def: $vgpr53
                                        ; implicit-def: $vgpr51
                                        ; implicit-def: $vgpr41
                                        ; implicit-def: $vgpr37
                                        ; implicit-def: $vgpr21
                                        ; implicit-def: $vgpr15
                                        ; implicit-def: $vgpr11
                                        ; implicit-def: $vgpr17
                                        ; implicit-def: $vgpr45
                                        ; implicit-def: $vgpr49
                                        ; implicit-def: $vgpr47
                                        ; implicit-def: $vgpr39
                                        ; implicit-def: $vgpr23
                                        ; implicit-def: $vgpr13
	s_load_dwordx2 s[0:1], s[0:1], 0x0
	s_load_dwordx2 s[4:5], s[4:5], 0x20
	s_waitcnt lgkmcnt(0)
	v_mul_lo_u32 v4, s0, v8
	v_mul_lo_u32 v9, s1, v7
	v_mad_u64_u32 v[5:6], null, s0, v7, v[1:2]
	v_mul_u32_u24_e32 v1, 0x77, v3
	v_mov_b32_e32 v2, 0
	v_mov_b32_e32 v3, 0
	v_cmp_gt_u64_e32 vcc_lo, s[4:5], v[7:8]
                                        ; implicit-def: $vgpr7
	v_add3_u32 v6, v9, v6, v4
	v_sub_nc_u32_e32 v4, v0, v1
	v_mov_b32_e32 v43, v3
	v_mov_b32_e32 v42, v2
                                        ; implicit-def: $vgpr9
	v_lshlrev_b64 v[0:1], 3, v[5:6]
	s_and_saveexec_b32 s1, vcc_lo
	s_cbranch_execz .LBB0_11
; %bb.10:
	v_mov_b32_e32 v5, 0
	v_add_co_u32 v6, s0, s2, v0
	v_add_co_ci_u32_e64 v7, s0, s3, v1, s0
	v_lshlrev_b64 v[2:3], 3, v[4:5]
	v_add_co_u32 v2, s0, v6, v2
	v_add_co_ci_u32_e64 v3, s0, v7, v3, s0
	v_add_co_u32 v6, s0, 0x800, v2
	v_add_co_ci_u32_e64 v7, s0, 0, v3, s0
	;; [unrolled: 2-line block ×7, first 2 shown]
	s_clause 0xb
	global_load_dwordx2 v[42:43], v[2:3], off
	global_load_dwordx2 v[52:53], v[2:3], off offset:952
	global_load_dwordx2 v[50:51], v[2:3], off offset:1904
	;; [unrolled: 1-line block ×11, first 2 shown]
	v_add_co_u32 v2, s0, 0x3800, v2
	v_add_co_ci_u32_e64 v3, s0, 0, v3, s0
	s_clause 0x4
	global_load_dwordx2 v[22:23], v[18:19], off offset:1184
	global_load_dwordx2 v[38:39], v[24:25], off offset:88
	;; [unrolled: 1-line block ×5, first 2 shown]
	v_mov_b32_e32 v2, v4
	v_mov_b32_e32 v3, v5
.LBB0_11:
	s_or_b32 exec_lo, exec_lo, s1
	s_waitcnt vmcnt(0)
	v_sub_f32_e32 v18, v53, v47
	v_add_f32_e32 v19, v52, v46
	v_sub_f32_e32 v25, v51, v49
	v_add_f32_e32 v24, v50, v48
	v_add_f32_e32 v5, v52, v42
	v_mul_f32_e32 v26, 0xbeb8f4ab, v18
	v_mul_f32_e32 v27, 0xbf2c7751, v18
	;; [unrolled: 1-line block ×9, first 2 shown]
	v_fmamk_f32 v34, v19, 0x3f6eb680, v26
	v_fma_f32 v26, 0x3f6eb680, v19, -v26
	v_fmamk_f32 v35, v19, 0x3f3d2fb0, v27
	v_fma_f32 v27, 0x3f3d2fb0, v19, -v27
	;; [unrolled: 2-line block ×7, first 2 shown]
	v_fmamk_f32 v59, v19, 0xbf7ba420, v18
	v_fmamk_f32 v60, v24, 0x3f3d2fb0, v33
	v_add_f32_e32 v34, v34, v42
	v_add_f32_e32 v26, v26, v42
	v_mul_f32_e32 v61, 0xbf7ee86f, v25
	v_fma_f32 v18, 0xbf7ba420, v19, -v18
	v_fma_f32 v19, 0x3f3d2fb0, v24, -v33
	v_add_f32_e32 v35, v35, v42
	v_add_f32_e32 v33, v60, v34
	v_mul_f32_e32 v34, 0xbf4c4adb, v25
	v_fmamk_f32 v60, v24, 0x3dbcf732, v61
	v_add_f32_e32 v19, v19, v26
	v_mul_f32_e32 v26, 0xbe3c28d5, v25
	v_add_f32_e32 v27, v27, v42
	v_add_f32_e32 v28, v28, v42
	;; [unrolled: 1-line block ×3, first 2 shown]
	v_fma_f32 v61, 0x3dbcf732, v24, -v61
	v_fmamk_f32 v62, v24, 0xbf1a4643, v34
	v_add_f32_e32 v35, v60, v35
	v_fma_f32 v34, 0xbf1a4643, v24, -v34
	v_fmamk_f32 v60, v24, 0xbf7ba420, v26
	v_add_f32_e32 v54, v54, v42
	v_add_f32_e32 v29, v29, v42
	;; [unrolled: 1-line block ×3, first 2 shown]
	v_fma_f32 v26, 0xbf7ba420, v24, -v26
	v_mul_f32_e32 v61, 0x3f06c442, v25
	v_add_f32_e32 v28, v34, v28
	v_add_f32_e32 v34, v60, v55
	v_mul_f32_e32 v55, 0x3f763a35, v25
	v_add_f32_e32 v56, v56, v42
	v_add_f32_e32 v31, v31, v42
	;; [unrolled: 1-line block ×4, first 2 shown]
	v_fmamk_f32 v29, v24, 0xbf59a7d5, v61
	v_fma_f32 v60, 0xbf59a7d5, v24, -v61
	v_mul_f32_e32 v61, 0x3f65296c, v25
	v_fmamk_f32 v62, v24, 0xbe8c1d8e, v55
	v_fma_f32 v55, 0xbe8c1d8e, v24, -v55
	v_add_f32_e32 v30, v30, v42
	v_add_f32_e32 v57, v57, v42
	;; [unrolled: 1-line block ×4, first 2 shown]
	v_fmamk_f32 v56, v24, 0x3ee437d1, v61
	v_add_f32_e32 v31, v55, v31
	v_sub_f32_e32 v55, v41, v45
	v_mul_f32_e32 v25, 0x3eb8f4ab, v25
	v_add_f32_e32 v32, v32, v42
	v_add_f32_e32 v30, v60, v30
	;; [unrolled: 1-line block ×4, first 2 shown]
	v_fma_f32 v58, 0x3ee437d1, v24, -v61
	v_add_f32_e32 v60, v40, v44
	v_mul_f32_e32 v61, 0xbf65296c, v55
	v_fmamk_f32 v62, v24, 0x3f6eb680, v25
	v_add_f32_e32 v18, v18, v42
	v_fma_f32 v24, 0x3f6eb680, v24, -v25
	v_add_f32_e32 v59, v59, v42
	v_add_f32_e32 v25, v58, v32
	v_fmamk_f32 v32, v60, 0x3ee437d1, v61
	v_mul_f32_e32 v58, 0xbf4c4adb, v55
	v_add_f32_e32 v18, v24, v18
	v_fma_f32 v24, 0x3ee437d1, v60, -v61
	v_add_f32_e32 v42, v62, v59
	v_add_f32_e32 v32, v32, v33
	v_mul_f32_e32 v33, 0x3e3c28d5, v55
	v_fmamk_f32 v59, v60, 0xbf1a4643, v58
	v_fma_f32 v58, 0xbf1a4643, v60, -v58
	v_add_f32_e32 v19, v24, v19
	v_mul_f32_e32 v24, 0x3f763a35, v55
	v_fmamk_f32 v61, v60, 0xbf7ba420, v33
	v_fma_f32 v33, 0xbf7ba420, v60, -v33
	v_add_f32_e32 v27, v58, v27
	v_add_f32_e32 v35, v59, v35
	v_fmamk_f32 v58, v60, 0xbe8c1d8e, v24
	v_fma_f32 v24, 0xbe8c1d8e, v60, -v24
	v_mul_f32_e32 v59, 0x3f2c7751, v55
	v_add_f32_e32 v28, v33, v28
	v_add_f32_e32 v54, v61, v54
	;; [unrolled: 1-line block ×3, first 2 shown]
	v_mul_f32_e32 v34, 0xbeb8f4ab, v55
	v_add_f32_e32 v24, v24, v26
	v_fmamk_f32 v26, v60, 0x3f3d2fb0, v59
	v_fma_f32 v58, 0x3f3d2fb0, v60, -v59
	v_mul_f32_e32 v59, 0xbf7ee86f, v55
	v_fmamk_f32 v61, v60, 0x3f6eb680, v34
	v_fma_f32 v34, 0x3f6eb680, v60, -v34
	v_add_f32_e32 v26, v26, v29
	v_add_f32_e32 v29, v58, v30
	v_fmamk_f32 v30, v60, 0x3dbcf732, v59
	v_mul_f32_e32 v55, 0xbf06c442, v55
	v_add_f32_e32 v31, v34, v31
	v_sub_f32_e32 v34, v37, v39
	v_add_f32_e32 v58, v36, v38
	v_add_f32_e32 v30, v30, v56
	v_fma_f32 v56, 0x3dbcf732, v60, -v59
	v_add_f32_e32 v57, v61, v57
	v_mul_f32_e32 v59, 0xbf7ee86f, v34
	v_fmamk_f32 v61, v60, 0xbf59a7d5, v55
	v_fma_f32 v55, 0xbf59a7d5, v60, -v55
	v_add_f32_e32 v25, v56, v25
	v_mul_f32_e32 v60, 0xbe3c28d5, v34
	v_fmamk_f32 v56, v58, 0x3dbcf732, v59
	v_add_f32_e32 v42, v61, v42
	v_add_f32_e32 v18, v55, v18
	v_fma_f32 v55, 0x3dbcf732, v58, -v59
	v_fmamk_f32 v59, v58, 0xbf7ba420, v60
	v_add_f32_e32 v32, v56, v32
	v_mul_f32_e32 v56, 0x3f763a35, v34
	v_fma_f32 v60, 0xbf7ba420, v58, -v60
	v_add_f32_e32 v19, v55, v19
	v_mul_f32_e32 v55, 0x3eb8f4ab, v34
	v_add_f32_e32 v35, v59, v35
	v_fmamk_f32 v61, v58, 0xbe8c1d8e, v56
	v_fma_f32 v56, 0xbe8c1d8e, v58, -v56
	v_add_f32_e32 v27, v60, v27
	v_fmamk_f32 v59, v58, 0x3f6eb680, v55
	v_fma_f32 v55, 0x3f6eb680, v58, -v55
	v_mul_f32_e32 v60, 0xbf65296c, v34
	v_add_f32_e32 v28, v56, v28
	v_mul_f32_e32 v56, 0xbf06c442, v34
	v_add_f32_e32 v54, v61, v54
	v_add_f32_e32 v33, v59, v33
	;; [unrolled: 1-line block ×3, first 2 shown]
	v_fmamk_f32 v55, v58, 0x3ee437d1, v60
	v_fma_f32 v59, 0x3ee437d1, v58, -v60
	v_mul_f32_e32 v60, 0x3f4c4adb, v34
	v_fmamk_f32 v61, v58, 0xbf59a7d5, v56
	v_fma_f32 v56, 0xbf59a7d5, v58, -v56
	v_add_f32_e32 v26, v55, v26
	v_add_f32_e32 v5, v50, v5
	v_fmamk_f32 v55, v58, 0xbf1a4643, v60
	v_add_f32_e32 v29, v59, v29
	v_add_f32_e32 v31, v56, v31
	v_sub_f32_e32 v56, v21, v23
	v_mul_f32_e32 v34, 0x3f2c7751, v34
	v_add_f32_e32 v30, v55, v30
	v_fma_f32 v55, 0xbf1a4643, v58, -v60
	v_add_f32_e32 v59, v20, v22
	v_mul_f32_e32 v60, 0xbf763a35, v56
	v_add_f32_e32 v5, v40, v5
	v_add_f32_e32 v57, v61, v57
	v_fmamk_f32 v61, v58, 0x3f3d2fb0, v34
	v_fma_f32 v34, 0x3f3d2fb0, v58, -v34
	v_add_f32_e32 v25, v55, v25
	v_fmamk_f32 v55, v59, 0xbe8c1d8e, v60
	v_add_f32_e32 v5, v36, v5
	v_mul_f32_e32 v58, 0x3f06c442, v56
	v_add_f32_e32 v18, v34, v18
	v_fma_f32 v34, 0xbe8c1d8e, v59, -v60
	v_add_f32_e32 v32, v55, v32
	v_mul_f32_e32 v55, 0x3f2c7751, v56
	v_add_f32_e32 v5, v20, v5
	v_add_f32_e32 v42, v61, v42
	v_fmamk_f32 v60, v59, 0xbf59a7d5, v58
	v_fma_f32 v58, 0xbf59a7d5, v59, -v58
	v_add_f32_e32 v19, v34, v19
	v_mul_f32_e32 v34, 0xbf65296c, v56
	v_fmamk_f32 v61, v59, 0x3f3d2fb0, v55
	v_fma_f32 v55, 0x3f3d2fb0, v59, -v55
	v_add_f32_e32 v5, v14, v5
	v_add_f32_e32 v35, v60, v35
	;; [unrolled: 1-line block ×3, first 2 shown]
	v_fmamk_f32 v58, v59, 0x3ee437d1, v34
	v_fma_f32 v34, 0x3ee437d1, v59, -v34
	v_mul_f32_e32 v60, 0xbe3c28d5, v56
	v_add_f32_e32 v28, v55, v28
	v_mul_f32_e32 v55, 0x3f7ee86f, v56
	v_add_f32_e32 v5, v10, v5
	v_add_f32_e32 v54, v61, v54
	;; [unrolled: 1-line block ×4, first 2 shown]
	v_fmamk_f32 v34, v59, 0xbf7ba420, v60
	v_fma_f32 v58, 0xbf7ba420, v59, -v60
	v_mul_f32_e32 v60, 0xbeb8f4ab, v56
	v_fmamk_f32 v61, v59, 0x3dbcf732, v55
	v_fma_f32 v55, 0x3dbcf732, v59, -v55
	v_add_f32_e32 v5, v6, v5
	v_add_f32_e32 v26, v34, v26
	v_fmamk_f32 v34, v59, 0x3f6eb680, v60
	v_add_f32_e32 v29, v58, v29
	v_add_f32_e32 v31, v55, v31
	v_sub_f32_e32 v55, v15, v17
	v_add_f32_e32 v5, v8, v5
	v_mul_f32_e32 v56, 0xbf4c4adb, v56
	v_add_f32_e32 v30, v34, v30
	v_fma_f32 v34, 0x3f6eb680, v59, -v60
	v_add_f32_e32 v58, v14, v16
	v_mul_f32_e32 v60, 0xbf4c4adb, v55
	v_add_f32_e32 v5, v12, v5
	v_add_f32_e32 v57, v61, v57
	v_fmamk_f32 v61, v59, 0xbf1a4643, v56
	v_fma_f32 v56, 0xbf1a4643, v59, -v56
	v_add_f32_e32 v25, v34, v25
	v_fmamk_f32 v34, v58, 0xbf1a4643, v60
	v_add_f32_e32 v5, v16, v5
	v_mul_f32_e32 v59, 0x3f763a35, v55
	v_add_f32_e32 v18, v56, v18
	v_fma_f32 v56, 0xbf1a4643, v58, -v60
	v_add_f32_e32 v32, v34, v32
	v_mul_f32_e32 v34, 0xbeb8f4ab, v55
	v_add_f32_e32 v5, v22, v5
	v_add_f32_e32 v42, v61, v42
	v_fmamk_f32 v60, v58, 0xbe8c1d8e, v59
	v_fma_f32 v59, 0xbe8c1d8e, v58, -v59
	v_add_f32_e32 v19, v56, v19
	v_mul_f32_e32 v56, 0xbf06c442, v55
	v_fmamk_f32 v61, v58, 0x3f6eb680, v34
	v_fma_f32 v34, 0x3f6eb680, v58, -v34
	v_add_f32_e32 v5, v38, v5
	v_add_f32_e32 v35, v60, v35
	;; [unrolled: 1-line block ×3, first 2 shown]
	v_fmamk_f32 v59, v58, 0xbf59a7d5, v56
	v_fma_f32 v56, 0xbf59a7d5, v58, -v56
	v_mul_f32_e32 v60, 0x3f7ee86f, v55
	v_add_f32_e32 v28, v34, v28
	v_mul_f32_e32 v34, 0xbf2c7751, v55
	v_add_f32_e32 v5, v44, v5
	v_add_f32_e32 v54, v61, v54
	v_add_f32_e32 v33, v59, v33
	v_add_f32_e32 v24, v56, v24
	v_fmamk_f32 v56, v58, 0x3dbcf732, v60
	v_fma_f32 v59, 0x3dbcf732, v58, -v60
	v_mul_f32_e32 v60, 0xbe3c28d5, v55
	v_fmamk_f32 v61, v58, 0x3f3d2fb0, v34
	v_fma_f32 v34, 0x3f3d2fb0, v58, -v34
	v_add_f32_e32 v5, v48, v5
	v_add_f32_e32 v26, v56, v26
	v_fmamk_f32 v56, v58, 0xbf7ba420, v60
	v_mul_f32_e32 v55, 0x3f65296c, v55
	v_add_f32_e32 v31, v34, v31
	v_sub_f32_e32 v34, v11, v13
	v_add_f32_e32 v29, v59, v29
	v_add_f32_e32 v30, v56, v30
	v_fma_f32 v56, 0xbf7ba420, v58, -v60
	v_add_f32_e32 v59, v10, v12
	v_mul_f32_e32 v60, 0xbf06c442, v34
	v_add_f32_e32 v62, v46, v5
	v_fma_f32 v5, 0x3ee437d1, v58, -v55
	v_add_f32_e32 v57, v61, v57
	v_fmamk_f32 v61, v58, 0x3ee437d1, v55
	v_add_f32_e32 v25, v56, v25
	v_fmamk_f32 v55, v59, 0xbf59a7d5, v60
	v_mul_f32_e32 v56, 0x3f65296c, v34
	v_add_f32_e32 v5, v5, v18
	v_fma_f32 v18, 0xbf59a7d5, v59, -v60
	v_add_f32_e32 v42, v61, v42
	v_add_f32_e32 v32, v55, v32
	v_mul_f32_e32 v55, 0xbf7ee86f, v34
	v_fmamk_f32 v58, v59, 0x3ee437d1, v56
	v_fma_f32 v56, 0x3ee437d1, v59, -v56
	v_add_f32_e32 v18, v18, v19
	v_mul_f32_e32 v19, 0x3f4c4adb, v34
	v_fmamk_f32 v60, v59, 0x3dbcf732, v55
	v_add_f32_e32 v35, v58, v35
	v_add_f32_e32 v27, v56, v27
	v_fma_f32 v55, 0x3dbcf732, v59, -v55
	v_fmamk_f32 v56, v59, 0xbf1a4643, v19
	v_mul_f32_e32 v58, 0xbeb8f4ab, v34
	v_fma_f32 v19, 0xbf1a4643, v59, -v19
	v_add_f32_e32 v54, v60, v54
	v_add_f32_e32 v28, v55, v28
	;; [unrolled: 1-line block ×3, first 2 shown]
	v_mul_f32_e32 v55, 0xbe3c28d5, v34
	v_fmamk_f32 v56, v59, 0x3f6eb680, v58
	v_add_f32_e32 v19, v19, v24
	v_fma_f32 v24, 0x3f6eb680, v59, -v58
	v_mul_f32_e32 v58, 0x3f2c7751, v34
	v_fmamk_f32 v60, v59, 0xbf7ba420, v55
	v_fma_f32 v55, 0xbf7ba420, v59, -v55
	v_mul_f32_e32 v34, 0xbf763a35, v34
	v_add_f32_e32 v24, v24, v29
	v_fmamk_f32 v29, v59, 0x3f3d2fb0, v58
	v_add_f32_e32 v57, v60, v57
	v_sub_f32_e32 v60, v7, v9
	v_add_f32_e32 v26, v56, v26
	v_add_f32_e32 v31, v55, v31
	;; [unrolled: 1-line block ×3, first 2 shown]
	v_fma_f32 v30, 0x3f3d2fb0, v59, -v58
	v_fmamk_f32 v55, v59, 0xbe8c1d8e, v34
	v_add_f32_e32 v58, v6, v8
	v_mul_f32_e32 v56, 0xbe3c28d5, v60
	v_fma_f32 v34, 0xbe8c1d8e, v59, -v34
	v_add_f32_e32 v25, v30, v25
	v_mul_f32_e32 v30, 0x3eb8f4ab, v60
	v_add_f32_e32 v42, v55, v42
	v_fmamk_f32 v55, v58, 0xbf7ba420, v56
	v_add_f32_e32 v34, v34, v5
	v_fma_f32 v5, 0xbf7ba420, v58, -v56
	v_fmamk_f32 v56, v58, 0x3f6eb680, v30
	v_mul_f32_e32 v59, 0xbf06c442, v60
	v_add_f32_e32 v32, v55, v32
	v_fma_f32 v30, 0x3f6eb680, v58, -v30
	v_add_f32_e32 v55, v5, v18
	v_add_f32_e32 v18, v56, v35
	v_fmamk_f32 v5, v58, 0xbf59a7d5, v59
	v_mul_f32_e32 v35, 0x3f2c7751, v60
	v_add_f32_e32 v56, v30, v27
	v_fma_f32 v27, 0xbf59a7d5, v58, -v59
	v_mul_f32_e32 v30, 0xbf4c4adb, v60
	v_add_f32_e32 v59, v5, v54
	v_fmamk_f32 v5, v58, 0x3f3d2fb0, v35
	v_fma_f32 v35, 0x3f3d2fb0, v58, -v35
	v_add_f32_e32 v54, v27, v28
	v_fmamk_f32 v27, v58, 0xbf1a4643, v30
	v_mul_f32_e32 v28, 0x3f65296c, v60
	v_add_f32_e32 v33, v5, v33
	v_fma_f32 v5, 0xbf1a4643, v58, -v30
	v_add_f32_e32 v19, v35, v19
	v_add_f32_e32 v26, v27, v26
	v_fmamk_f32 v27, v58, 0x3ee437d1, v28
	v_fma_f32 v28, 0x3ee437d1, v58, -v28
	v_add_f32_e32 v24, v5, v24
	v_mul_f32_e32 v5, 0x3f7ee86f, v60
	v_mul_f32_e32 v30, 0xbf763a35, v60
	v_add_f32_e32 v27, v27, v57
	v_add_f32_e32 v28, v28, v31
	v_cmp_gt_u32_e64 s0, 51, v4
	v_fmamk_f32 v35, v58, 0x3dbcf732, v5
	v_fma_f32 v57, 0x3dbcf732, v58, -v5
	v_mad_u32_u24 v5, 0x44, v4, 0
	v_fmamk_f32 v31, v58, 0xbe8c1d8e, v30
	v_fma_f32 v30, 0xbe8c1d8e, v58, -v30
	ds_write2_b32 v5, v62, v32 offset1:1
	ds_write2_b32 v5, v18, v59 offset0:2 offset1:3
	v_lshlrev_b32_e32 v18, 6, v4
	v_add_f32_e32 v25, v30, v25
	v_add_f32_e32 v30, v35, v42
	;; [unrolled: 1-line block ×4, first 2 shown]
	v_sub_nc_u32_e32 v42, v5, v18
	ds_write2_b32 v5, v33, v26 offset0:4 offset1:5
	ds_write2_b32 v5, v27, v29 offset0:6 offset1:7
	;; [unrolled: 1-line block ×6, first 2 shown]
	ds_write_b32 v5, v55 offset:64
	s_waitcnt lgkmcnt(0)
	v_add_nc_u32_e32 v62, 0x800, v42
	v_add_nc_u32_e32 v61, 0x400, v42
	;; [unrolled: 1-line block ×6, first 2 shown]
	s_barrier
	buffer_gl0_inv
	ds_read2_b32 v[18:19], v42 offset1:119
	ds_read2_b32 v[24:25], v61 offset0:33 offset1:152
	ds_read2_b32 v[30:31], v62 offset0:66 offset1:185
	;; [unrolled: 1-line block ×6, first 2 shown]
                                        ; implicit-def: $vgpr59
                                        ; implicit-def: $vgpr57
                                        ; implicit-def: $vgpr58
                                        ; implicit-def: $vgpr60
	s_and_saveexec_b32 s1, s0
	s_cbranch_execz .LBB0_13
; %bb.12:
	ds_read_b32 v54, v42 offset:952
	ds_read_b32 v56, v42 offset:2108
	;; [unrolled: 1-line block ×7, first 2 shown]
.LBB0_13:
	s_or_b32 exec_lo, exec_lo, s1
	v_add_f32_e32 v67, v53, v43
	v_sub_f32_e32 v48, v50, v48
	v_sub_f32_e32 v46, v52, v46
	v_add_f32_e32 v52, v53, v47
	v_add_f32_e32 v53, v51, v49
	;; [unrolled: 1-line block ×3, first 2 shown]
	v_mul_f32_e32 v73, 0xbf2c7751, v48
	v_mul_f32_e32 v51, 0xbeb8f4ab, v46
	;; [unrolled: 1-line block ×4, first 2 shown]
	v_add_f32_e32 v50, v41, v50
	v_mul_f32_e32 v69, 0xbf7ee86f, v46
	v_mul_f32_e32 v70, 0xbf763a35, v46
	;; [unrolled: 1-line block ×4, first 2 shown]
	v_add_f32_e32 v50, v37, v50
	v_mul_f32_e32 v46, 0xbe3c28d5, v46
	v_fma_f32 v78, 0x3f6eb680, v52, -v51
	v_fmac_f32_e32 v51, 0x3f6eb680, v52
	v_fma_f32 v79, 0x3f3d2fb0, v52, -v67
	v_add_f32_e32 v50, v21, v50
	v_fmac_f32_e32 v67, 0x3f3d2fb0, v52
	v_fma_f32 v80, 0x3ee437d1, v52, -v68
	v_fmac_f32_e32 v68, 0x3ee437d1, v52
	v_fma_f32 v81, 0x3dbcf732, v52, -v69
	v_add_f32_e32 v50, v15, v50
	v_fmac_f32_e32 v69, 0x3dbcf732, v52
	;; [unrolled: 5-line block ×4, first 2 shown]
	v_mul_f32_e32 v75, 0xbf4c4adb, v48
	v_mul_f32_e32 v76, 0xbe3c28d5, v48
	v_fma_f32 v52, 0x3f3d2fb0, v53, -v73
	v_add_f32_e32 v50, v9, v50
	v_fmac_f32_e32 v73, 0x3f3d2fb0, v53
	v_add_f32_e32 v78, v78, v43
	v_add_f32_e32 v51, v51, v43
	v_add_f32_e32 v79, v79, v43
	v_add_f32_e32 v50, v13, v50
	v_add_f32_e32 v67, v67, v43
	v_add_f32_e32 v80, v80, v43
	v_add_f32_e32 v68, v68, v43
	v_add_f32_e32 v81, v81, v43
	v_add_f32_e32 v50, v17, v50
	v_add_f32_e32 v69, v69, v43
	v_add_f32_e32 v82, v82, v43
	v_add_f32_e32 v70, v70, v43
	v_add_f32_e32 v83, v83, v43
	v_add_f32_e32 v50, v23, v50
	v_add_f32_e32 v71, v71, v43
	v_add_f32_e32 v84, v84, v43
	v_add_f32_e32 v72, v72, v43
	v_add_f32_e32 v85, v85, v43
	v_add_f32_e32 v50, v39, v50
	v_add_f32_e32 v46, v46, v43
	v_fma_f32 v87, 0xbf1a4643, v53, -v75
	v_fmac_f32_e32 v75, 0xbf1a4643, v53
	v_mul_f32_e32 v74, 0xbf7ee86f, v48
	v_add_f32_e32 v50, v45, v50
	v_mul_f32_e32 v77, 0x3f06c442, v48
	v_sub_f32_e32 v40, v40, v44
	v_add_f32_e32 v68, v75, v68
	v_fma_f32 v86, 0x3dbcf732, v53, -v74
	v_add_f32_e32 v43, v49, v50
	v_add_f32_e32 v49, v73, v51
	v_mul_f32_e32 v73, 0x3f763a35, v48
	v_fmac_f32_e32 v74, 0x3dbcf732, v53
	v_add_f32_e32 v41, v41, v45
	v_add_f32_e32 v43, v47, v43
	v_fma_f32 v47, 0xbf7ba420, v53, -v76
	v_fmac_f32_e32 v76, 0xbf7ba420, v53
	v_fma_f32 v75, 0xbe8c1d8e, v53, -v73
	v_fmac_f32_e32 v73, 0xbe8c1d8e, v53
	v_mul_f32_e32 v45, 0xbf65296c, v40
	v_add_f32_e32 v52, v52, v78
	v_add_f32_e32 v69, v76, v69
	v_mul_f32_e32 v76, 0x3f65296c, v48
	v_mul_f32_e32 v48, 0x3eb8f4ab, v48
	v_add_f32_e32 v71, v73, v71
	v_add_f32_e32 v51, v74, v67
	v_fma_f32 v74, 0xbf59a7d5, v53, -v77
	v_fma_f32 v44, 0x3ee437d1, v53, -v76
	v_fmac_f32_e32 v76, 0x3ee437d1, v53
	v_fma_f32 v73, 0x3f6eb680, v53, -v48
	v_fmac_f32_e32 v48, 0x3f6eb680, v53
	v_fmac_f32_e32 v77, 0xbf59a7d5, v53
	v_add_f32_e32 v50, v86, v79
	v_add_f32_e32 v53, v76, v72
	;; [unrolled: 1-line block ×3, first 2 shown]
	v_fma_f32 v73, 0x3ee437d1, v41, -v45
	v_mul_f32_e32 v76, 0xbf4c4adb, v40
	v_add_f32_e32 v46, v48, v46
	v_fmac_f32_e32 v45, 0x3ee437d1, v41
	v_mul_f32_e32 v48, 0x3e3c28d5, v40
	v_add_f32_e32 v67, v87, v80
	v_add_f32_e32 v70, v77, v70
	;; [unrolled: 1-line block ×3, first 2 shown]
	v_fma_f32 v73, 0xbf1a4643, v41, -v76
	v_add_f32_e32 v45, v45, v49
	v_fma_f32 v49, 0xbf7ba420, v41, -v48
	v_mul_f32_e32 v77, 0x3f763a35, v40
	v_add_f32_e32 v47, v47, v81
	v_add_f32_e32 v50, v73, v50
	v_mul_f32_e32 v73, 0x3f2c7751, v40
	v_add_f32_e32 v49, v49, v67
	v_fma_f32 v67, 0xbe8c1d8e, v41, -v77
	v_fmac_f32_e32 v77, 0xbe8c1d8e, v41
	v_add_f32_e32 v74, v74, v82
	v_fmac_f32_e32 v48, 0xbf7ba420, v41
	v_add_f32_e32 v44, v44, v84
	v_add_f32_e32 v47, v67, v47
	v_fma_f32 v67, 0x3f3d2fb0, v41, -v73
	v_add_f32_e32 v69, v77, v69
	v_mul_f32_e32 v77, 0xbf7ee86f, v40
	v_fmac_f32_e32 v76, 0xbf1a4643, v41
	v_add_f32_e32 v48, v48, v68
	v_mul_f32_e32 v68, 0xbeb8f4ab, v40
	v_add_f32_e32 v67, v67, v74
	v_fma_f32 v74, 0x3dbcf732, v41, -v77
	v_mul_f32_e32 v40, 0xbf06c442, v40
	v_sub_f32_e32 v36, v36, v38
	v_add_f32_e32 v51, v76, v51
	v_fma_f32 v76, 0x3f6eb680, v41, -v68
	v_fmac_f32_e32 v68, 0x3f6eb680, v41
	v_add_f32_e32 v38, v74, v44
	v_fma_f32 v44, 0xbf59a7d5, v41, -v40
	v_add_f32_e32 v37, v37, v39
	v_mul_f32_e32 v39, 0xbf7ee86f, v36
	v_fmac_f32_e32 v40, 0xbf59a7d5, v41
	v_add_f32_e32 v68, v68, v71
	v_fmac_f32_e32 v73, 0x3f3d2fb0, v41
	v_fmac_f32_e32 v77, 0x3dbcf732, v41
	v_fma_f32 v71, 0x3dbcf732, v37, -v39
	v_fmac_f32_e32 v39, 0x3dbcf732, v37
	v_add_f32_e32 v40, v40, v46
	v_mul_f32_e32 v46, 0x3f763a35, v36
	v_add_f32_e32 v41, v44, v72
	v_mul_f32_e32 v44, 0xbe3c28d5, v36
	v_add_f32_e32 v39, v39, v45
	v_add_f32_e32 v52, v71, v52
	v_fma_f32 v45, 0xbe8c1d8e, v37, -v46
	v_mul_f32_e32 v71, 0x3eb8f4ab, v36
	v_fma_f32 v72, 0xbf7ba420, v37, -v44
	v_fmac_f32_e32 v44, 0xbf7ba420, v37
	v_fmac_f32_e32 v46, 0xbe8c1d8e, v37
	v_add_f32_e32 v45, v45, v49
	v_mul_f32_e32 v49, 0xbf65296c, v36
	v_add_f32_e32 v70, v73, v70
	v_add_f32_e32 v50, v72, v50
	;; [unrolled: 1-line block ×3, first 2 shown]
	v_fma_f32 v51, 0x3f6eb680, v37, -v71
	v_add_f32_e32 v46, v46, v48
	v_fmac_f32_e32 v71, 0x3f6eb680, v37
	v_mul_f32_e32 v48, 0xbf06c442, v36
	v_fma_f32 v72, 0x3ee437d1, v37, -v49
	v_fmac_f32_e32 v49, 0x3ee437d1, v37
	v_add_f32_e32 v47, v51, v47
	v_add_f32_e32 v51, v71, v69
	v_fma_f32 v69, 0xbf59a7d5, v37, -v48
	v_fmac_f32_e32 v48, 0xbf59a7d5, v37
	v_add_f32_e32 v49, v49, v70
	v_mul_f32_e32 v70, 0x3f4c4adb, v36
	v_mul_f32_e32 v36, 0x3f2c7751, v36
	v_sub_f32_e32 v20, v20, v22
	v_add_f32_e32 v53, v77, v53
	v_add_f32_e32 v48, v48, v68
	v_fma_f32 v22, 0xbf1a4643, v37, -v70
	v_fmac_f32_e32 v70, 0xbf1a4643, v37
	v_fma_f32 v68, 0x3f3d2fb0, v37, -v36
	v_add_f32_e32 v21, v21, v23
	v_mul_f32_e32 v23, 0xbf763a35, v20
	v_fmac_f32_e32 v36, 0x3f3d2fb0, v37
	v_add_f32_e32 v22, v22, v38
	v_add_f32_e32 v37, v70, v53
	;; [unrolled: 1-line block ×3, first 2 shown]
	v_fma_f32 v41, 0xbe8c1d8e, v21, -v23
	v_mul_f32_e32 v53, 0x3f06c442, v20
	v_add_f32_e32 v36, v36, v40
	v_fmac_f32_e32 v23, 0xbe8c1d8e, v21
	v_mul_f32_e32 v40, 0x3f2c7751, v20
	v_add_f32_e32 v75, v75, v83
	v_add_f32_e32 v41, v41, v52
	v_fma_f32 v52, 0xbf59a7d5, v21, -v53
	v_add_f32_e32 v23, v23, v39
	v_fma_f32 v39, 0x3f3d2fb0, v21, -v40
	v_mul_f32_e32 v68, 0xbf65296c, v20
	v_fmac_f32_e32 v40, 0x3f3d2fb0, v21
	v_add_f32_e32 v73, v76, v75
	v_fmac_f32_e32 v53, 0xbf59a7d5, v21
	v_add_f32_e32 v50, v52, v50
	v_add_f32_e32 v39, v39, v45
	v_fma_f32 v45, 0x3ee437d1, v21, -v68
	v_mul_f32_e32 v52, 0xbe3c28d5, v20
	v_fmac_f32_e32 v68, 0x3ee437d1, v21
	v_add_f32_e32 v40, v40, v46
	v_mul_f32_e32 v46, 0x3f7ee86f, v20
	v_add_f32_e32 v69, v69, v73
	v_add_f32_e32 v44, v53, v44
	;; [unrolled: 1-line block ×3, first 2 shown]
	v_fma_f32 v47, 0xbf7ba420, v21, -v52
	v_add_f32_e32 v51, v68, v51
	v_fmac_f32_e32 v52, 0xbf7ba420, v21
	v_fma_f32 v53, 0x3dbcf732, v21, -v46
	v_mul_f32_e32 v68, 0xbeb8f4ab, v20
	v_mul_f32_e32 v20, 0xbf4c4adb, v20
	v_sub_f32_e32 v14, v14, v16
	v_add_f32_e32 v49, v52, v49
	v_add_f32_e32 v52, v53, v69
	v_fma_f32 v53, 0x3f6eb680, v21, -v68
	v_add_f32_e32 v15, v15, v17
	v_mul_f32_e32 v17, 0xbf4c4adb, v14
	v_fmac_f32_e32 v46, 0x3dbcf732, v21
	v_fmac_f32_e32 v68, 0x3f6eb680, v21
	v_add_f32_e32 v16, v53, v22
	v_fma_f32 v22, 0xbf1a4643, v21, -v20
	v_fmac_f32_e32 v20, 0xbf1a4643, v21
	v_add_f32_e32 v46, v46, v48
	v_sub_f32_e32 v10, v10, v12
	v_add_f32_e32 v37, v68, v37
	v_add_f32_e32 v21, v22, v38
	v_mul_f32_e32 v22, 0x3f763a35, v14
	v_fma_f32 v38, 0xbf1a4643, v15, -v17
	v_fmac_f32_e32 v17, 0xbf1a4643, v15
	v_add_f32_e32 v20, v20, v36
	v_mul_f32_e32 v36, 0xbeb8f4ab, v14
	v_fma_f32 v48, 0xbe8c1d8e, v15, -v22
	v_add_f32_e32 v38, v38, v41
	v_add_f32_e32 v17, v17, v23
	v_fmac_f32_e32 v22, 0xbe8c1d8e, v15
	v_fma_f32 v23, 0x3f6eb680, v15, -v36
	v_add_f32_e32 v41, v48, v50
	v_mul_f32_e32 v48, 0xbf06c442, v14
	v_fmac_f32_e32 v36, 0x3f6eb680, v15
	v_add_f32_e32 v22, v22, v44
	v_add_f32_e32 v23, v23, v39
	v_mul_f32_e32 v39, 0x3f7ee86f, v14
	v_fma_f32 v44, 0xbf59a7d5, v15, -v48
	v_add_f32_e32 v36, v36, v40
	v_fmac_f32_e32 v48, 0xbf59a7d5, v15
	v_mul_f32_e32 v40, 0xbf2c7751, v14
	v_fma_f32 v50, 0x3dbcf732, v15, -v39
	v_fmac_f32_e32 v39, 0x3dbcf732, v15
	v_add_f32_e32 v44, v44, v45
	v_add_f32_e32 v45, v48, v51
	v_fma_f32 v48, 0x3f3d2fb0, v15, -v40
	v_fmac_f32_e32 v40, 0x3f3d2fb0, v15
	v_add_f32_e32 v39, v39, v49
	v_mul_f32_e32 v49, 0xbe3c28d5, v14
	v_mul_f32_e32 v14, 0x3f65296c, v14
	v_add_f32_e32 v11, v11, v13
	v_add_f32_e32 v40, v40, v46
	v_mul_f32_e32 v13, 0xbf06c442, v10
	v_fma_f32 v12, 0xbf7ba420, v15, -v49
	v_fmac_f32_e32 v49, 0xbf7ba420, v15
	v_fma_f32 v46, 0x3ee437d1, v15, -v14
	v_fmac_f32_e32 v14, 0x3ee437d1, v15
	v_add_f32_e32 v67, v72, v67
	v_add_f32_e32 v12, v12, v16
	;; [unrolled: 1-line block ×4, first 2 shown]
	v_fma_f32 v21, 0xbf59a7d5, v11, -v13
	v_mul_f32_e32 v37, 0x3f65296c, v10
	v_add_f32_e32 v14, v14, v20
	v_fmac_f32_e32 v13, 0xbf59a7d5, v11
	v_mul_f32_e32 v20, 0xbf7ee86f, v10
	v_add_f32_e32 v21, v21, v38
	v_fma_f32 v38, 0x3ee437d1, v11, -v37
	v_fmac_f32_e32 v37, 0x3ee437d1, v11
	v_add_f32_e32 v13, v13, v17
	v_fma_f32 v17, 0x3dbcf732, v11, -v20
	v_mul_f32_e32 v46, 0x3f4c4adb, v10
	v_add_f32_e32 v47, v47, v67
	v_add_f32_e32 v22, v37, v22
	v_mul_f32_e32 v37, 0xbeb8f4ab, v10
	v_add_f32_e32 v23, v17, v23
	v_fma_f32 v17, 0xbf1a4643, v11, -v46
	v_fmac_f32_e32 v46, 0xbf1a4643, v11
	v_add_f32_e32 v47, v50, v47
	v_add_f32_e32 v38, v38, v41
	v_fmac_f32_e32 v20, 0x3dbcf732, v11
	v_add_f32_e32 v41, v17, v44
	v_fma_f32 v17, 0x3f6eb680, v11, -v37
	v_add_f32_e32 v44, v46, v45
	v_mul_f32_e32 v46, 0x3f2c7751, v10
	v_add_f32_e32 v20, v20, v36
	v_mul_f32_e32 v36, 0xbe3c28d5, v10
	;; [unrolled: 2-line block ×3, first 2 shown]
	v_fma_f32 v17, 0x3f3d2fb0, v11, -v46
	v_sub_f32_e32 v6, v6, v8
	v_add_f32_e32 v7, v7, v9
	v_fmac_f32_e32 v37, 0x3f6eb680, v11
	v_fma_f32 v45, 0xbf7ba420, v11, -v36
	v_add_f32_e32 v8, v17, v12
	v_fma_f32 v12, 0xbe8c1d8e, v11, -v10
	v_mul_f32_e32 v9, 0xbe3c28d5, v6
	v_fmac_f32_e32 v10, 0xbe8c1d8e, v11
	v_fmac_f32_e32 v36, 0xbf7ba420, v11
	;; [unrolled: 1-line block ×3, first 2 shown]
	v_add_f32_e32 v11, v12, v16
	v_mul_f32_e32 v12, 0x3eb8f4ab, v6
	v_fma_f32 v16, 0xbf7ba420, v7, -v9
	v_fmac_f32_e32 v9, 0xbf7ba420, v7
	v_add_f32_e32 v10, v10, v14
	v_mul_f32_e32 v14, 0xbf06c442, v6
	v_add_f32_e32 v36, v36, v40
	v_fma_f32 v40, 0x3f6eb680, v7, -v12
	v_add_f32_e32 v16, v16, v21
	v_add_f32_e32 v17, v9, v13
	v_fmac_f32_e32 v12, 0x3f6eb680, v7
	v_fma_f32 v9, 0xbf59a7d5, v7, -v14
	v_mul_f32_e32 v21, 0x3f2c7751, v6
	v_fmac_f32_e32 v14, 0xbf59a7d5, v7
	v_add_f32_e32 v48, v48, v52
	v_add_f32_e32 v13, v40, v38
	;; [unrolled: 1-line block ×4, first 2 shown]
	v_mul_f32_e32 v12, 0xbf4c4adb, v6
	v_fma_f32 v38, 0x3f3d2fb0, v7, -v21
	v_add_f32_e32 v23, v14, v20
	v_mul_f32_e32 v14, 0x3f65296c, v6
	v_add_f32_e32 v37, v37, v39
	v_add_f32_e32 v39, v45, v48
	v_fma_f32 v20, 0xbf1a4643, v7, -v12
	v_add_f32_e32 v38, v38, v41
	v_fmac_f32_e32 v12, 0xbf1a4643, v7
	v_fma_f32 v40, 0x3ee437d1, v7, -v14
	v_mul_f32_e32 v41, 0xbf763a35, v6
	v_mul_f32_e32 v6, 0x3f7ee86f, v6
	v_add_f32_e32 v15, v46, v15
	v_add_f32_e32 v12, v12, v37
	;; [unrolled: 1-line block ×3, first 2 shown]
	v_fma_f32 v39, 0xbe8c1d8e, v7, -v41
	v_fmac_f32_e32 v21, 0x3f3d2fb0, v7
	v_fmac_f32_e32 v14, 0x3ee437d1, v7
	v_fmac_f32_e32 v41, 0xbe8c1d8e, v7
	v_fma_f32 v40, 0x3dbcf732, v7, -v6
	v_fmac_f32_e32 v6, 0x3dbcf732, v7
	v_add_f32_e32 v20, v20, v47
	v_add_f32_e32 v8, v39, v8
	;; [unrolled: 1-line block ×7, first 2 shown]
	s_waitcnt lgkmcnt(0)
	s_barrier
	buffer_gl0_inv
	ds_write2_b32 v5, v43, v16 offset1:1
	ds_write2_b32 v5, v13, v9 offset0:2 offset1:3
	ds_write2_b32 v5, v38, v20 offset0:4 offset1:5
	;; [unrolled: 1-line block ×7, first 2 shown]
	ds_write_b32 v5, v17 offset:64
	s_waitcnt lgkmcnt(0)
	s_barrier
	buffer_gl0_inv
	ds_read2_b32 v[5:6], v42 offset1:119
	ds_read2_b32 v[20:21], v61 offset0:33 offset1:152
	ds_read2_b32 v[15:16], v62 offset0:66 offset1:185
	;; [unrolled: 1-line block ×6, first 2 shown]
                                        ; implicit-def: $vgpr49
                                        ; implicit-def: $vgpr47
                                        ; implicit-def: $vgpr48
                                        ; implicit-def: $vgpr50
	s_and_saveexec_b32 s1, s0
	s_cbranch_execz .LBB0_15
; %bb.14:
	ds_read_b32 v23, v42 offset:952
	ds_read_b32 v22, v42 offset:2108
	;; [unrolled: 1-line block ×7, first 2 shown]
.LBB0_15:
	s_or_b32 exec_lo, exec_lo, s1
	v_and_b32_e32 v36, 0xff, v4
	v_mov_b32_e32 v38, 0xf0f1
	v_mov_b32_e32 v40, 6
	v_add_nc_u16 v44, v4, 0x77
	v_mov_b32_e32 v51, 2
	v_mul_lo_u16 v36, 0xf1, v36
	v_lshrrev_b16 v37, 12, v36
	v_add_nc_u32_e32 v36, 0xee, v4
	v_mul_lo_u16 v39, v37, 17
	v_mul_u32_u24_sdwa v38, v36, v38 dst_sel:DWORD dst_unused:UNUSED_PAD src0_sel:WORD_0 src1_sel:DWORD
	v_sub_nc_u16 v39, v4, v39
	v_lshrrev_b32_e32 v38, 20, v38
	v_mul_u32_u24_sdwa v41, v39, v40 dst_sel:DWORD dst_unused:UNUSED_PAD src0_sel:BYTE_0 src1_sel:DWORD
	v_mul_lo_u16 v43, v38, 17
	v_lshlrev_b32_sdwa v39, v51, v39 dst_sel:DWORD dst_unused:UNUSED_PAD src0_sel:DWORD src1_sel:BYTE_0
	v_lshlrev_b32_e32 v41, 3, v41
	v_sub_nc_u16 v36, v36, v43
	v_and_b32_e32 v43, 0xff, v44
	s_clause 0x1
	global_load_dwordx4 v[65:68], v41, s[8:9]
	global_load_dwordx4 v[69:72], v41, s[8:9] offset:16
	v_mul_u32_u24_sdwa v45, v36, v40 dst_sel:DWORD dst_unused:UNUSED_PAD src0_sel:WORD_0 src1_sel:DWORD
	v_mul_lo_u16 v43, 0xf1, v43
	v_lshlrev_b32_e32 v45, 3, v45
	s_clause 0x1
	global_load_dwordx4 v[73:76], v41, s[8:9] offset:32
	global_load_dwordx4 v[77:80], v45, s[8:9]
	v_lshrrev_b16 v41, 12, v43
	s_clause 0x1
	global_load_dwordx4 v[81:84], v45, s[8:9] offset:16
	global_load_dwordx4 v[85:88], v45, s[8:9] offset:32
	v_mul_lo_u16 v43, v41, 17
	v_sub_nc_u16 v43, v44, v43
	v_mul_u32_u24_sdwa v40, v43, v40 dst_sel:DWORD dst_unused:UNUSED_PAD src0_sel:BYTE_0 src1_sel:DWORD
	v_lshlrev_b32_e32 v40, 3, v40
	s_clause 0x2
	global_load_dwordx4 v[89:92], v40, s[8:9]
	global_load_dwordx4 v[93:96], v40, s[8:9] offset:16
	global_load_dwordx4 v[97:100], v40, s[8:9] offset:32
	v_mov_b32_e32 v40, 0x1dc
	s_waitcnt vmcnt(0) lgkmcnt(0)
	s_barrier
	buffer_gl0_inv
	v_mul_u32_u24_sdwa v44, v37, v40 dst_sel:DWORD dst_unused:UNUSED_PAD src0_sel:WORD_0 src1_sel:DWORD
	v_mul_u32_u24_sdwa v40, v41, v40 dst_sel:DWORD dst_unused:UNUSED_PAD src0_sel:WORD_0 src1_sel:DWORD
	v_lshlrev_b32_sdwa v41, v51, v43 dst_sel:DWORD dst_unused:UNUSED_PAD src0_sel:DWORD src1_sel:BYTE_0
	v_mul_lo_u16 v37, 0x77, v38
	v_add3_u32 v39, 0, v44, v39
	v_add3_u32 v38, 0, v40, v41
	v_mul_f32_e32 v53, v20, v66
	v_mul_f32_e32 v66, v24, v66
	;; [unrolled: 1-line block ×8, first 2 shown]
	v_fmac_f32_e32 v53, v24, v65
	v_fma_f32 v66, v20, v65, -v66
	v_mul_f32_e32 v63, v9, v74
	v_mul_f32_e32 v74, v34, v74
	;; [unrolled: 1-line block ×12, first 2 shown]
	v_fmac_f32_e32 v52, v30, v67
	v_fma_f32 v67, v15, v67, -v68
	v_fmac_f32_e32 v61, v28, v69
	v_fma_f32 v65, v13, v69, -v70
	;; [unrolled: 2-line block ×5, first 2 shown]
	v_fma_f32 v7, v22, v77, -v78
	v_fma_f32 v24, v17, v79, -v80
	v_mul_f32_e32 v45, v48, v86
	v_mul_f32_e32 v9, v21, v90
	v_mul_f32_e32 v22, v25, v90
	v_mul_f32_e32 v11, v16, v92
	v_mul_f32_e32 v13, v14, v94
	v_mul_f32_e32 v17, v10, v98
	v_mul_f32_e32 v20, v8, v100
	v_mul_f32_e32 v86, v58, v86
	v_mul_f32_e32 v46, v47, v88
	v_mul_f32_e32 v88, v57, v88
	v_fmac_f32_e32 v41, v56, v77
	v_fmac_f32_e32 v40, v55, v79
	v_mul_f32_e32 v55, v31, v92
	v_mul_f32_e32 v56, v29, v94
	;; [unrolled: 1-line block ×3, first 2 shown]
	v_fmac_f32_e32 v43, v60, v81
	v_mul_f32_e32 v60, v27, v96
	v_fma_f32 v26, v50, v81, -v82
	v_mul_f32_e32 v50, v35, v98
	v_fma_f32 v28, v49, v83, -v84
	v_mul_f32_e32 v49, v33, v100
	v_fmac_f32_e32 v9, v25, v89
	v_fma_f32 v21, v21, v89, -v22
	v_fmac_f32_e32 v11, v31, v91
	v_fmac_f32_e32 v13, v29, v93
	;; [unrolled: 1-line block ×4, first 2 shown]
	v_add_f32_e32 v22, v53, v64
	v_add_f32_e32 v25, v52, v63
	;; [unrolled: 1-line block ×3, first 2 shown]
	v_sub_f32_e32 v31, v67, v34
	v_sub_f32_e32 v33, v68, v65
	v_fma_f32 v30, v48, v85, -v86
	v_fma_f32 v32, v47, v87, -v88
	;; [unrolled: 1-line block ×4, first 2 shown]
	v_fmac_f32_e32 v15, v27, v95
	v_fma_f32 v12, v12, v95, -v60
	v_fma_f32 v10, v10, v97, -v50
	;; [unrolled: 1-line block ×3, first 2 shown]
	v_sub_f32_e32 v27, v66, v69
	v_add_f32_e32 v35, v25, v22
	v_sub_f32_e32 v47, v25, v22
	v_sub_f32_e32 v22, v22, v29
	;; [unrolled: 1-line block ×3, first 2 shown]
	v_add_f32_e32 v48, v33, v31
	v_sub_f32_e32 v49, v33, v31
	v_add_f32_e32 v50, v9, v20
	v_add_f32_e32 v56, v11, v17
	v_fmac_f32_e32 v44, v59, v83
	v_fmac_f32_e32 v45, v58, v85
	;; [unrolled: 1-line block ×3, first 2 shown]
	v_sub_f32_e32 v33, v27, v33
	v_sub_f32_e32 v31, v31, v27
	;; [unrolled: 1-line block ×3, first 2 shown]
	v_add_f32_e32 v58, v13, v15
	v_sub_f32_e32 v59, v12, v14
	v_add_f32_e32 v29, v29, v35
	v_add_f32_e32 v27, v48, v27
	v_mul_f32_e32 v22, 0x3f4a47b2, v22
	v_mul_f32_e32 v35, 0x3d64c772, v25
	;; [unrolled: 1-line block ×3, first 2 shown]
	v_add_f32_e32 v60, v56, v50
	v_sub_f32_e32 v55, v21, v8
	v_mul_f32_e32 v49, 0xbf5ff5aa, v31
	v_sub_f32_e32 v70, v56, v50
	v_sub_f32_e32 v50, v50, v58
	;; [unrolled: 1-line block ×3, first 2 shown]
	v_add_f32_e32 v18, v18, v29
	v_fmamk_f32 v25, v25, 0x3d64c772, v22
	v_fma_f32 v35, 0x3f3bfb3b, v47, -v35
	v_fma_f32 v22, 0xbf3bfb3b, v47, -v22
	v_fmamk_f32 v47, v33, 0xbeae86e6, v48
	v_fma_f32 v31, 0xbf5ff5aa, v31, -v48
	v_add_f32_e32 v48, v58, v60
	v_sub_f32_e32 v56, v58, v56
	v_add_f32_e32 v71, v59, v57
	v_sub_f32_e32 v57, v57, v55
	v_sub_f32_e32 v59, v55, v59
	v_fma_f32 v33, 0x3eae86e6, v33, -v49
	v_mul_f32_e32 v50, 0x3f4a47b2, v50
	v_mul_f32_e32 v58, 0x3f08b237, v72
	v_fmamk_f32 v29, v29, 0xbf955555, v18
	v_add_f32_e32 v19, v19, v48
	v_add_f32_e32 v49, v71, v55
	v_mul_f32_e32 v55, 0x3d64c772, v56
	v_mul_f32_e32 v60, 0xbf5ff5aa, v57
	v_fmac_f32_e32 v47, 0xbee1c552, v27
	v_fmac_f32_e32 v31, 0xbee1c552, v27
	;; [unrolled: 1-line block ×3, first 2 shown]
	v_fmamk_f32 v27, v56, 0x3d64c772, v50
	v_fmamk_f32 v56, v59, 0xbeae86e6, v58
	v_add_f32_e32 v25, v25, v29
	v_add_f32_e32 v35, v35, v29
	;; [unrolled: 1-line block ×3, first 2 shown]
	v_fmamk_f32 v29, v48, 0xbf955555, v19
	v_fma_f32 v55, 0x3f3bfb3b, v70, -v55
	v_fma_f32 v50, 0xbf3bfb3b, v70, -v50
	;; [unrolled: 1-line block ×4, first 2 shown]
	v_fmac_f32_e32 v56, 0xbee1c552, v49
	v_add_f32_e32 v27, v27, v29
	v_add_f32_e32 v48, v47, v25
	v_fmac_f32_e32 v57, 0xbee1c552, v49
	v_fmac_f32_e32 v58, 0xbee1c552, v49
	v_sub_f32_e32 v59, v35, v31
	v_add_f32_e32 v31, v31, v35
	v_add_f32_e32 v35, v50, v29
	v_add_f32_e32 v29, v55, v29
	v_add_f32_e32 v49, v33, v22
	v_sub_f32_e32 v22, v22, v33
	v_sub_f32_e32 v25, v25, v47
	v_add_f32_e32 v33, v56, v27
	v_add_f32_e32 v47, v58, v35
	v_sub_f32_e32 v50, v29, v57
	v_add_f32_e32 v29, v57, v29
	v_sub_f32_e32 v35, v35, v58
	v_sub_f32_e32 v27, v27, v56
	ds_write2_b32 v39, v18, v48 offset1:17
	ds_write2_b32 v39, v49, v59 offset0:34 offset1:51
	ds_write2_b32 v39, v31, v22 offset0:68 offset1:85
	ds_write_b32 v39, v25 offset:408
	ds_write2_b32 v38, v19, v33 offset1:17
	ds_write2_b32 v38, v47, v50 offset0:34 offset1:51
	ds_write2_b32 v38, v29, v35 offset0:68 offset1:85
	ds_write_b32 v38, v27 offset:408
	s_and_saveexec_b32 s1, s0
	s_cbranch_execz .LBB0_17
; %bb.16:
	v_add_f32_e32 v18, v41, v46
	v_add_f32_e32 v19, v40, v45
	;; [unrolled: 1-line block ×3, first 2 shown]
	v_sub_f32_e32 v25, v7, v32
	v_sub_f32_e32 v27, v28, v26
	;; [unrolled: 1-line block ×3, first 2 shown]
	v_add_f32_e32 v29, v19, v18
	v_sub_f32_e32 v33, v18, v22
	v_sub_f32_e32 v35, v22, v19
	v_sub_f32_e32 v47, v25, v27
	v_sub_f32_e32 v18, v19, v18
	v_add_f32_e32 v22, v22, v29
	v_sub_f32_e32 v29, v27, v31
	v_add_f32_e32 v27, v27, v31
	v_sub_f32_e32 v31, v31, v25
	v_mul_f32_e32 v19, 0x3f4a47b2, v33
	v_add_f32_e32 v33, v54, v22
	v_mul_f32_e32 v48, 0x3d64c772, v35
	v_mul_f32_e32 v29, 0x3f08b237, v29
	;; [unrolled: 1-line block ×3, first 2 shown]
	v_fmamk_f32 v35, v35, 0x3d64c772, v19
	v_fmamk_f32 v22, v22, 0xbf955555, v33
	v_add_f32_e32 v25, v27, v25
	v_fmamk_f32 v27, v47, 0xbeae86e6, v29
	v_fma_f32 v19, 0xbf3bfb3b, v18, -v19
	v_fma_f32 v47, 0x3eae86e6, v47, -v49
	;; [unrolled: 1-line block ×4, first 2 shown]
	v_add_f32_e32 v35, v35, v22
	v_fmac_f32_e32 v27, 0xbee1c552, v25
	v_add_f32_e32 v19, v19, v22
	v_fmac_f32_e32 v47, 0xbee1c552, v25
	v_fmac_f32_e32 v29, 0xbee1c552, v25
	v_add_f32_e32 v18, v18, v22
	v_lshlrev_b32_sdwa v22, v51, v36 dst_sel:DWORD dst_unused:UNUSED_PAD src0_sel:DWORD src1_sel:WORD_0
	v_lshlrev_b32_sdwa v25, v51, v37 dst_sel:DWORD dst_unused:UNUSED_PAD src0_sel:DWORD src1_sel:WORD_0
	v_add_f32_e32 v49, v27, v35
	v_sub_f32_e32 v31, v19, v47
	v_sub_f32_e32 v48, v18, v29
	v_add_f32_e32 v19, v47, v19
	v_add3_u32 v22, 0, v22, v25
	v_add_f32_e32 v18, v29, v18
	v_sub_f32_e32 v25, v35, v27
	ds_write2_b32 v22, v33, v49 offset1:17
	ds_write2_b32 v22, v19, v48 offset0:34 offset1:51
	ds_write2_b32 v22, v18, v31 offset0:68 offset1:85
	ds_write_b32 v22, v25 offset:408
.LBB0_17:
	s_or_b32 exec_lo, exec_lo, s1
	v_add_f32_e32 v18, v66, v69
	v_add_f32_e32 v19, v67, v34
	;; [unrolled: 1-line block ×3, first 2 shown]
	v_sub_f32_e32 v27, v52, v63
	v_sub_f32_e32 v29, v62, v61
	;; [unrolled: 1-line block ×3, first 2 shown]
	v_add_f32_e32 v31, v19, v18
	v_sub_f32_e32 v33, v19, v18
	v_sub_f32_e32 v18, v18, v25
	;; [unrolled: 1-line block ×3, first 2 shown]
	v_add_f32_e32 v34, v29, v27
	v_add_f32_e32 v25, v25, v31
	v_sub_f32_e32 v31, v29, v27
	v_sub_f32_e32 v29, v22, v29
	v_sub_f32_e32 v27, v27, v22
	v_add_f32_e32 v22, v34, v22
	v_add_f32_e32 v34, v5, v25
	v_mul_f32_e32 v5, 0x3f4a47b2, v18
	v_mul_f32_e32 v18, 0x3d64c772, v19
	;; [unrolled: 1-line block ×4, first 2 shown]
	v_fmamk_f32 v25, v25, 0xbf955555, v34
	v_fmamk_f32 v19, v19, 0x3d64c772, v5
	v_fma_f32 v5, 0xbf3bfb3b, v33, -v5
	v_fma_f32 v18, 0x3f3bfb3b, v33, -v18
	v_fmamk_f32 v33, v29, 0xbeae86e6, v31
	v_fma_f32 v29, 0x3eae86e6, v29, -v35
	v_sub_f32_e32 v9, v9, v20
	v_add_f32_e32 v35, v5, v25
	v_add_f32_e32 v5, v21, v8
	;; [unrolled: 1-line block ×4, first 2 shown]
	v_sub_f32_e32 v11, v11, v17
	v_sub_f32_e32 v12, v15, v13
	v_fma_f32 v27, 0xbf5ff5aa, v27, -v31
	v_add_f32_e32 v13, v8, v5
	v_sub_f32_e32 v14, v8, v5
	v_sub_f32_e32 v5, v5, v10
	;; [unrolled: 1-line block ×3, first 2 shown]
	v_add_f32_e32 v15, v12, v11
	v_add_f32_e32 v10, v10, v13
	v_sub_f32_e32 v13, v12, v11
	v_sub_f32_e32 v11, v11, v9
	;; [unrolled: 1-line block ×3, first 2 shown]
	v_add_f32_e32 v9, v15, v9
	v_add_f32_e32 v51, v6, v10
	v_mul_f32_e32 v13, 0x3f08b237, v13
	v_mul_f32_e32 v15, 0xbf5ff5aa, v11
	;; [unrolled: 1-line block ×4, first 2 shown]
	v_add_f32_e32 v18, v18, v25
	v_fmac_f32_e32 v27, 0xbee1c552, v22
	v_fmamk_f32 v52, v12, 0xbeae86e6, v13
	v_fma_f32 v53, 0xbf5ff5aa, v11, -v13
	v_fma_f32 v54, 0x3eae86e6, v12, -v15
	v_fmamk_f32 v10, v10, 0xbf955555, v51
	v_fmamk_f32 v8, v8, 0x3d64c772, v5
	v_fma_f32 v6, 0x3f3bfb3b, v14, -v6
	v_fma_f32 v5, 0xbf3bfb3b, v14, -v5
	v_add_f32_e32 v49, v27, v18
	v_sub_f32_e32 v50, v18, v27
	v_lshl_add_u32 v27, v4, 2, 0
	v_fmac_f32_e32 v52, 0xbee1c552, v9
	v_fmac_f32_e32 v53, 0xbee1c552, v9
	;; [unrolled: 1-line block ×3, first 2 shown]
	v_add_nc_u32_e32 v9, 0x400, v42
	v_add_f32_e32 v8, v8, v10
	v_add_f32_e32 v55, v6, v10
	v_add_f32_e32 v56, v5, v10
	v_add_nc_u32_e32 v10, 0x800, v42
	v_add_f32_e32 v31, v19, v25
	s_waitcnt lgkmcnt(0)
	s_barrier
	buffer_gl0_inv
	ds_read2_b32 v[5:6], v42 offset1:119
	ds_read_b32 v25, v27 offset:952
	ds_read2_b32 v[15:16], v9 offset0:101 offset1:220
	ds_read2_b32 v[13:14], v10 offset0:83 offset1:202
	v_add_nc_u32_e32 v9, 0xc00, v42
	v_add_nc_u32_e32 v11, 0x1000, v42
	;; [unrolled: 1-line block ×5, first 2 shown]
	v_fmac_f32_e32 v33, 0xbee1c552, v22
	v_fmac_f32_e32 v29, 0xbee1c552, v22
	ds_read2_b32 v[9:10], v9 offset0:65 offset1:184
	ds_read2_b32 v[11:12], v11 offset0:47 offset1:166
	;; [unrolled: 1-line block ×5, first 2 shown]
	v_add_f32_e32 v57, v53, v55
	v_sub_f32_e32 v53, v55, v53
	v_sub_f32_e32 v47, v31, v33
	;; [unrolled: 1-line block ×3, first 2 shown]
	v_add_f32_e32 v29, v29, v35
	v_add_f32_e32 v31, v33, v31
	v_sub_f32_e32 v33, v8, v52
	v_sub_f32_e32 v35, v56, v54
	v_add_f32_e32 v54, v54, v56
	v_add_f32_e32 v8, v52, v8
	s_waitcnt lgkmcnt(0)
	s_barrier
	buffer_gl0_inv
	ds_write2_b32 v39, v34, v47 offset1:17
	ds_write2_b32 v39, v48, v49 offset0:34 offset1:51
	ds_write2_b32 v39, v50, v29 offset0:68 offset1:85
	ds_write_b32 v39, v31 offset:408
	ds_write2_b32 v38, v51, v33 offset1:17
	ds_write2_b32 v38, v35, v57 offset0:34 offset1:51
	ds_write2_b32 v38, v53, v54 offset0:68 offset1:85
	ds_write_b32 v38, v8 offset:408
	s_and_saveexec_b32 s1, s0
	s_cbranch_execz .LBB0_19
; %bb.18:
	v_add_f32_e32 v7, v7, v32
	v_add_f32_e32 v8, v24, v30
	;; [unrolled: 1-line block ×3, first 2 shown]
	v_sub_f32_e32 v28, v40, v45
	v_sub_f32_e32 v29, v44, v43
	;; [unrolled: 1-line block ×3, first 2 shown]
	v_add_f32_e32 v30, v8, v7
	v_sub_f32_e32 v31, v8, v7
	v_sub_f32_e32 v7, v7, v26
	;; [unrolled: 1-line block ×3, first 2 shown]
	v_add_f32_e32 v32, v29, v28
	v_add_f32_e32 v26, v26, v30
	v_sub_f32_e32 v30, v29, v28
	v_sub_f32_e32 v29, v24, v29
	;; [unrolled: 1-line block ×3, first 2 shown]
	v_add_f32_e32 v24, v32, v24
	v_add_f32_e32 v23, v23, v26
	v_mul_f32_e32 v32, 0x3d64c772, v8
	v_mul_f32_e32 v7, 0x3f4a47b2, v7
	;; [unrolled: 1-line block ×4, first 2 shown]
	v_fmamk_f32 v26, v26, 0xbf955555, v23
	v_fma_f32 v32, 0x3f3bfb3b, v31, -v32
	v_fmamk_f32 v8, v8, 0x3d64c772, v7
	v_fma_f32 v7, 0xbf3bfb3b, v31, -v7
	;; [unrolled: 2-line block ×3, first 2 shown]
	v_fma_f32 v29, 0x3eae86e6, v29, -v33
	v_add_f32_e32 v30, v32, v26
	v_mov_b32_e32 v32, 2
	v_add_f32_e32 v8, v8, v26
	v_add_f32_e32 v7, v7, v26
	v_fmac_f32_e32 v31, 0xbee1c552, v24
	v_fmac_f32_e32 v28, 0xbee1c552, v24
	;; [unrolled: 1-line block ×3, first 2 shown]
	v_lshlrev_b32_sdwa v24, v32, v36 dst_sel:DWORD dst_unused:UNUSED_PAD src0_sel:DWORD src1_sel:WORD_0
	v_lshlrev_b32_sdwa v26, v32, v37 dst_sel:DWORD dst_unused:UNUSED_PAD src0_sel:DWORD src1_sel:WORD_0
	v_sub_f32_e32 v32, v8, v31
	v_add_f32_e32 v34, v28, v30
	v_sub_f32_e32 v33, v7, v29
	v_add_f32_e32 v7, v29, v7
	v_add3_u32 v24, 0, v24, v26
	v_sub_f32_e32 v26, v30, v28
	v_add_f32_e32 v8, v31, v8
	ds_write2_b32 v24, v23, v32 offset1:17
	ds_write2_b32 v24, v33, v34 offset0:34 offset1:51
	ds_write2_b32 v24, v26, v7 offset0:68 offset1:85
	ds_write_b32 v24, v8 offset:408
.LBB0_19:
	s_or_b32 exec_lo, exec_lo, s1
	s_waitcnt lgkmcnt(0)
	s_barrier
	buffer_gl0_inv
	s_and_saveexec_b32 s0, vcc_lo
	s_cbranch_execz .LBB0_21
; %bb.20:
	v_lshlrev_b32_e32 v7, 4, v4
	v_mov_b32_e32 v8, 0
	v_add_nc_u32_e32 v4, 0x1a00, v42
	v_add_nc_u32_e32 v26, 0x400, v42
	;; [unrolled: 1-line block ×4, first 2 shown]
	v_lshlrev_b64 v[7:8], 3, v[7:8]
	v_add_nc_u32_e32 v44, 0x1400, v42
	v_add_nc_u32_e32 v45, 0xc00, v42
	v_lshlrev_b64 v[2:3], 3, v[2:3]
	v_add_co_u32 v7, vcc_lo, s8, v7
	v_add_co_ci_u32_e32 v8, vcc_lo, s9, v8, vcc_lo
	v_add_co_u32 v0, vcc_lo, s2, v0
	s_clause 0x7
	global_load_dwordx4 v[28:31], v[7:8], off offset:816
	global_load_dwordx4 v[33:36], v[7:8], off offset:928
	;; [unrolled: 1-line block ×8, first 2 shown]
	ds_read2_b32 v[7:8], v42 offset1:119
	ds_read_b32 v41, v27 offset:952
	v_add_nc_u32_e32 v42, 0x1000, v42
	ds_read2_b32 v[23:24], v4 offset0:121 offset1:240
	ds_read2_b32 v[26:27], v26 offset0:101 offset1:220
	;; [unrolled: 1-line block ×7, first 2 shown]
	v_add_co_ci_u32_e32 v1, vcc_lo, s3, v1, vcc_lo
	v_add_co_u32 v0, vcc_lo, v0, v2
	v_add_co_ci_u32_e32 v1, vcc_lo, v1, v3, vcc_lo
	s_waitcnt vmcnt(7)
	v_mul_f32_e32 v57, v6, v28
	s_waitcnt vmcnt(6)
	v_mul_f32_e32 v4, v22, v35
	v_mul_f32_e32 v22, v22, v36
	;; [unrolled: 1-line block ×6, first 2 shown]
	s_waitcnt lgkmcnt(8)
	v_fmac_f32_e32 v57, v8, v29
	s_waitcnt lgkmcnt(6)
	v_fmac_f32_e32 v4, v24, v36
	v_mul_f32_e32 v21, v21, v34
	s_waitcnt vmcnt(2)
	v_mul_f32_e32 v48, v17, v77
	v_fma_f32 v42, v24, v35, -v22
	v_fma_f32 v76, v8, v28, -v6
	v_fmac_f32_e32 v56, v41, v31
	v_fmac_f32_e32 v32, v23, v34
	v_fma_f32 v72, v41, v30, -v25
	v_sub_f32_e32 v41, v57, v4
	v_mul_f32_e32 v54, v16, v39
	v_mul_f32_e32 v44, v19, v60
	;; [unrolled: 1-line block ×6, first 2 shown]
	v_fma_f32 v45, v23, v33, -v21
	s_waitcnt lgkmcnt(2)
	v_fmac_f32_e32 v48, v89, v78
	v_add_f32_e32 v78, v76, v42
	v_sub_f32_e32 v31, v56, v32
	v_sub_f32_e32 v119, v76, v42
	v_mul_f32_e32 v113, 0xbf2c7751, v41
	v_mul_f32_e32 v43, v20, v62
	;; [unrolled: 1-line block ×4, first 2 shown]
	v_fmac_f32_e32 v54, v27, v40
	v_fma_f32 v51, v68, v60, -v19
	v_fma_f32 v60, v90, v79, -v18
	v_add_f32_e32 v79, v72, v45
	v_add_f32_e32 v40, v57, v4
	v_sub_f32_e32 v118, v72, v45
	v_mul_f32_e32 v97, 0xbf7ee86f, v31
	v_mul_f32_e32 v116, 0xbf2c7751, v119
	;; [unrolled: 1-line block ×3, first 2 shown]
	v_fmamk_f32 v161, v78, 0x3f3d2fb0, v113
	v_fmac_f32_e32 v43, v69, v63
	v_fma_f32 v47, v69, v62, -v20
	v_fma_f32 v69, v27, v39, -v16
	v_add_f32_e32 v39, v56, v32
	v_mul_f32_e32 v107, 0xbf7ee86f, v118
	v_mul_f32_e32 v129, 0xbf4c4adb, v31
	v_mul_f32_e32 v127, 0xbf65296c, v119
	v_mul_f32_e32 v149, 0xbf4c4adb, v119
	v_fmamk_f32 v162, v79, 0x3dbcf732, v97
	v_fma_f32 v163, 0x3f3d2fb0, v40, -v116
	v_fmamk_f32 v182, v78, 0x3ee437d1, v130
	v_add_f32_e32 v161, v7, v161
	v_mul_f32_e32 v55, v15, v37
	v_mul_f32_e32 v15, v15, v38
	;; [unrolled: 1-line block ×5, first 2 shown]
	s_waitcnt vmcnt(1)
	v_mul_f32_e32 v50, v9, v81
	v_mul_f32_e32 v9, v9, v82
	;; [unrolled: 1-line block ×7, first 2 shown]
	v_fma_f32 v164, 0x3dbcf732, v39, -v107
	v_fmamk_f32 v183, v79, 0xbf1a4643, v129
	v_fma_f32 v184, 0x3ee437d1, v40, -v127
	v_add_f32_e32 v163, v5, v163
	v_add_f32_e32 v182, v7, v182
	;; [unrolled: 1-line block ×3, first 2 shown]
	v_fma_f32 v162, 0xbf1a4643, v40, -v149
	v_mul_f32_e32 v13, v13, v65
	s_waitcnt vmcnt(0)
	v_mul_f32_e32 v49, v12, v87
	v_mul_f32_e32 v12, v12, v88
	;; [unrolled: 1-line block ×4, first 2 shown]
	v_fmac_f32_e32 v55, v26, v38
	v_fma_f32 v70, v26, v37, -v15
	v_fmac_f32_e32 v53, v73, v65
	v_fmac_f32_e32 v52, v74, v67
	v_fma_f32 v67, v74, v66, -v14
	s_waitcnt lgkmcnt(1)
	v_fma_f32 v66, v91, v81, -v9
	v_fma_f32 v65, v92, v83, -v10
	v_mul_f32_e32 v95, 0xbeb8f4ab, v41
	v_mul_f32_e32 v9, 0x3eb8f4ab, v31
	;; [unrolled: 1-line block ×3, first 2 shown]
	v_fma_f32 v185, 0xbf1a4643, v39, -v126
	v_add_f32_e32 v163, v163, v164
	v_fma_f32 v164, 0xbe8c1d8e, v39, -v146
	v_add_f32_e32 v184, v5, v184
	v_add_f32_e32 v182, v182, v183
	v_fmamk_f32 v183, v78, 0xbf7ba420, v8
	v_add_f32_e32 v162, v5, v162
	s_waitcnt lgkmcnt(0)
	v_fmac_f32_e32 v49, v94, v88
	v_fma_f32 v62, v94, v87, -v12
	v_fmac_f32_e32 v58, v93, v86
	v_fma_f32 v63, v93, v85, -v11
	v_sub_f32_e32 v30, v55, v43
	v_sub_f32_e32 v117, v70, v47
	v_mul_f32_e32 v93, 0xbf2c7751, v31
	v_mul_f32_e32 v94, 0xbeb8f4ab, v119
	;; [unrolled: 1-line block ×3, first 2 shown]
	v_fmamk_f32 v143, v78, 0x3f6eb680, v95
	v_add_f32_e32 v184, v184, v185
	v_fmamk_f32 v185, v79, 0x3f6eb680, v9
	v_add_f32_e32 v183, v7, v183
	v_add_f32_e32 v162, v162, v164
	v_fma_f32 v164, 0xbf7ba420, v40, -v10
	v_fmac_f32_e32 v10, 0xbf7ba420, v40
	v_fmac_f32_e32 v44, v68, v61
	v_fma_f32 v61, v89, v77, -v17
	v_fmac_f32_e32 v59, v92, v84
	v_add_f32_e32 v77, v70, v47
	v_add_f32_e32 v38, v55, v43
	v_mul_f32_e32 v92, 0xbf2c7751, v118
	v_mul_f32_e32 v115, 0xbf4c4adb, v30
	;; [unrolled: 1-line block ×4, first 2 shown]
	v_fma_f32 v144, 0x3f6eb680, v40, -v94
	v_fmamk_f32 v153, v79, 0x3f3d2fb0, v93
	v_add_f32_e32 v143, v7, v143
	v_fma_f32 v8, 0xbf7ba420, v78, -v8
	v_add_f32_e32 v183, v183, v185
	v_fma_f32 v185, 0x3f6eb680, v39, -v11
	v_fmac_f32_e32 v11, 0x3f6eb680, v39
	v_add_f32_e32 v10, v5, v10
	v_fmac_f32_e32 v46, v90, v80
	v_fma_f32 v68, v73, v64, -v13
	v_fmac_f32_e32 v50, v91, v82
	v_sub_f32_e32 v29, v54, v44
	v_sub_f32_e32 v24, v69, v51
	v_mul_f32_e32 v89, 0xbf65296c, v30
	v_mul_f32_e32 v91, 0xbf65296c, v117
	;; [unrolled: 1-line block ×7, first 2 shown]
	v_fma_f32 v154, 0x3f3d2fb0, v39, -v92
	v_fmamk_f32 v167, v77, 0xbf1a4643, v115
	v_add_f32_e32 v144, v5, v144
	v_add_f32_e32 v143, v143, v153
	v_fmamk_f32 v153, v78, 0xbf1a4643, v150
	v_fma_f32 v9, 0x3f6eb680, v79, -v9
	v_add_f32_e32 v8, v7, v8
	v_add_f32_e32 v10, v10, v11
	v_fma_f32 v11, 0xbf7ba420, v38, -v125
	v_add_f32_e32 v75, v69, v51
	v_sub_f32_e32 v28, v53, v46
	v_add_f32_e32 v37, v54, v44
	v_sub_f32_e32 v110, v68, v60
	v_mul_f32_e32 v85, 0xbf7ee86f, v29
	v_mul_f32_e32 v88, 0xbf7ee86f, v24
	;; [unrolled: 1-line block ×9, first 2 shown]
	v_fmamk_f32 v155, v77, 0x3ee437d1, v89
	v_fma_f32 v156, 0x3ee437d1, v38, -v91
	v_fma_f32 v168, 0xbf1a4643, v38, -v104
	v_add_f32_e32 v144, v144, v154
	v_fmamk_f32 v154, v79, 0xbe8c1d8e, v20
	v_add_f32_e32 v153, v7, v153
	v_add_f32_e32 v8, v8, v9
	v_fmamk_f32 v9, v77, 0xbf7ba420, v132
	v_add_f32_e32 v161, v161, v167
	v_fma_f32 v167, 0x3f6eb680, v38, -v21
	v_add_f32_e32 v11, v184, v11
	v_fmamk_f32 v184, v77, 0xbf59a7d5, v12
	v_add_f32_e32 v74, v68, v60
	v_sub_f32_e32 v27, v52, v48
	v_add_f32_e32 v36, v53, v46
	v_sub_f32_e32 v108, v67, v61
	v_mul_f32_e32 v82, 0xbf763a35, v28
	v_mul_f32_e32 v87, 0xbf763a35, v110
	;; [unrolled: 1-line block ×8, first 2 shown]
	v_fmamk_f32 v157, v75, 0x3dbcf732, v85
	v_fma_f32 v158, 0x3dbcf732, v37, -v88
	v_fmamk_f32 v171, v75, 0xbf7ba420, v114
	v_fma_f32 v172, 0xbf7ba420, v37, -v103
	v_add_f32_e32 v153, v153, v154
	v_add_f32_e32 v164, v5, v164
	;; [unrolled: 1-line block ×3, first 2 shown]
	v_fmamk_f32 v155, v75, 0xbe8c1d8e, v133
	v_add_f32_e32 v144, v144, v156
	v_fmamk_f32 v156, v77, 0x3f6eb680, v152
	v_add_f32_e32 v163, v163, v168
	v_fma_f32 v168, 0xbe8c1d8e, v37, -v124
	v_add_f32_e32 v9, v182, v9
	v_add_f32_e32 v162, v162, v167
	v_fma_f32 v167, 0xbf59a7d5, v38, -v13
	v_fma_f32 v12, 0xbf59a7d5, v77, -v12
	v_add_f32_e32 v183, v183, v184
	v_fma_f32 v184, 0xbf59a7d5, v37, -v145
	v_fmac_f32_e32 v13, 0xbf59a7d5, v38
	v_add_f32_e32 v73, v67, v61
	v_sub_f32_e32 v26, v50, v49
	v_add_f32_e32 v35, v52, v48
	v_sub_f32_e32 v105, v66, v62
	v_mul_f32_e32 v81, 0xbf4c4adb, v27
	v_mul_f32_e32 v86, 0xbf4c4adb, v108
	;; [unrolled: 1-line block ×10, first 2 shown]
	v_fmamk_f32 v160, v74, 0xbe8c1d8e, v82
	v_fma_f32 v165, 0xbe8c1d8e, v36, -v87
	v_fmamk_f32 v175, v74, 0xbf59a7d5, v111
	v_fma_f32 v176, 0xbf59a7d5, v36, -v101
	v_add_f32_e32 v164, v164, v185
	v_fmamk_f32 v182, v74, 0x3f3d2fb0, v134
	v_add_f32_e32 v153, v153, v156
	v_fmamk_f32 v156, v75, 0xbf59a7d5, v151
	v_add_f32_e32 v8, v8, v12
	v_add_f32_e32 v10, v10, v13
	;; [unrolled: 1-line block ×8, first 2 shown]
	v_fmamk_f32 v168, v75, 0x3f3d2fb0, v14
	v_add_f32_e32 v162, v162, v184
	v_fma_f32 v184, 0x3f3d2fb0, v37, -v15
	v_fma_f32 v14, 0x3f3d2fb0, v75, -v14
	v_fmac_f32_e32 v15, 0x3f3d2fb0, v37
	v_add_f32_e32 v71, v66, v62
	v_sub_f32_e32 v6, v59, v58
	v_add_f32_e32 v34, v50, v49
	v_sub_f32_e32 v102, v65, v63
	v_mul_f32_e32 v80, 0xbf06c442, v26
	v_mul_f32_e32 v84, 0xbf06c442, v105
	;; [unrolled: 1-line block ×10, first 2 shown]
	v_fmamk_f32 v166, v73, 0xbf1a4643, v81
	v_fma_f32 v169, 0xbf1a4643, v35, -v86
	v_fmamk_f32 v178, v73, 0xbe8c1d8e, v109
	v_fma_f32 v179, 0xbe8c1d8e, v35, -v99
	v_add_f32_e32 v164, v164, v167
	v_fma_f32 v167, 0x3f3d2fb0, v36, -v123
	v_fmamk_f32 v12, v73, 0x3f6eb680, v131
	v_fmamk_f32 v13, v74, 0x3dbcf732, v148
	v_fma_f32 v157, 0x3dbcf732, v36, -v139
	v_add_f32_e32 v153, v153, v156
	v_add_f32_e32 v8, v8, v14
	;; [unrolled: 1-line block ×6, first 2 shown]
	v_fmamk_f32 v175, v74, 0xbf1a4643, v16
	v_add_f32_e32 v163, v163, v176
	v_fma_f32 v176, 0xbf1a4643, v36, -v17
	v_add_f32_e32 v9, v9, v182
	v_fma_f32 v16, 0xbf1a4643, v74, -v16
	v_fmac_f32_e32 v17, 0xbf1a4643, v36
	v_add_f32_e32 v64, v65, v63
	v_add_f32_e32 v33, v59, v58
	v_mul_f32_e32 v90, 0xbe3c28d5, v6
	v_mul_f32_e32 v96, 0x3eb8f4ab, v102
	v_mul_f32_e32 v120, 0xbf7ee86f, v105
	v_mul_f32_e32 v122, 0xbf06c442, v6
	v_mul_f32_e32 v23, 0xbe3c28d5, v105
	v_mul_f32_e32 v137, 0xbf763a35, v26
	v_mul_f32_e32 v136, 0xbf59a7d5, v78
	v_fmamk_f32 v170, v71, 0xbf59a7d5, v80
	v_fma_f32 v173, 0xbf59a7d5, v34, -v84
	v_fmamk_f32 v180, v71, 0x3ee437d1, v106
	v_fma_f32 v181, 0x3ee437d1, v34, -v98
	v_fma_f32 v158, 0x3f6eb680, v35, -v121
	v_fmamk_f32 v171, v71, 0x3dbcf732, v128
	v_fmamk_f32 v172, v73, 0x3f3d2fb0, v147
	v_fma_f32 v155, 0x3f3d2fb0, v35, -v25
	v_add_f32_e32 v168, v183, v168
	v_add_f32_e32 v164, v164, v184
	v_fmamk_f32 v182, v73, 0x3ee437d1, v18
	v_add_f32_e32 v11, v11, v167
	v_fma_f32 v167, 0x3ee437d1, v35, -v19
	v_add_f32_e32 v13, v153, v13
	v_add_f32_e32 v157, v162, v157
	v_fma_f32 v18, 0x3ee437d1, v73, -v18
	v_fmac_f32_e32 v19, 0x3ee437d1, v35
	v_add_f32_e32 v8, v8, v16
	v_add_f32_e32 v10, v10, v17
	;; [unrolled: 1-line block ×7, first 2 shown]
	v_mul_f32_e32 v112, 0xbf06c442, v102
	v_mul_f32_e32 v142, 0xbe3c28d5, v26
	;; [unrolled: 1-line block ×4, first 2 shown]
	v_fmamk_f32 v174, v64, 0xbf7ba420, v90
	v_fma_f32 v185, 0x3f6eb680, v33, -v96
	v_fma_f32 v156, 0x3dbcf732, v34, -v120
	v_fmamk_f32 v183, v64, 0xbf59a7d5, v122
	v_fma_f32 v14, 0xbf7ba420, v34, -v23
	v_fmamk_f32 v153, v71, 0xbe8c1d8e, v137
	v_add_f32_e32 v168, v168, v175
	v_add_f32_e32 v164, v164, v176
	v_fma_f32 v137, 0xbe8c1d8e, v71, -v137
	v_fmamk_f32 v186, v41, 0x3f06c442, v136
	v_add_f32_e32 v11, v11, v158
	v_add_f32_e32 v12, v13, v172
	;; [unrolled: 1-line block ×10, first 2 shown]
	v_mul_f32_e32 v100, 0x3eb8f4ab, v6
	v_mul_f32_e32 v141, 0x3f7ee86f, v6
	v_fmamk_f32 v184, v71, 0xbf7ba420, v142
	v_fma_f32 v15, 0xbf59a7d5, v33, -v112
	v_fma_f32 v162, 0xbe8c1d8e, v34, -v140
	v_fmac_f32_e32 v140, 0xbe8c1d8e, v34
	v_add_f32_e32 v155, v168, v182
	v_add_f32_e32 v157, v164, v167
	;; [unrolled: 1-line block ×9, first 2 shown]
	v_fmamk_f32 v143, v31, 0xbf65296c, v135
	v_mul_f32_e32 v137, 0x3dbcf732, v77
	v_mul_f32_e32 v83, 0xbe3c28d5, v102
	;; [unrolled: 1-line block ×4, first 2 shown]
	v_fmamk_f32 v154, v64, 0x3f6eb680, v100
	v_fmamk_f32 v175, v64, 0x3dbcf732, v141
	v_add_f32_e32 v156, v12, v184
	v_add_f32_e32 v153, v155, v153
	;; [unrolled: 1-line block ×5, first 2 shown]
	v_mul_f32_e32 v157, 0xbf06c442, v119
	v_add_f32_e32 v19, v19, v143
	v_fmamk_f32 v140, v30, 0x3f7ee86f, v137
	v_mul_f32_e32 v144, 0xbf1a4643, v75
	v_fma_f32 v177, 0xbf7ba420, v33, -v83
	v_fmamk_f32 v160, v64, 0x3ee437d1, v138
	v_fma_f32 v176, 0x3dbcf732, v33, -v159
	v_add_f32_e32 v11, v17, v154
	v_add_f32_e32 v17, v153, v175
	v_fma_f32 v153, 0x3dbcf732, v64, -v141
	v_fmamk_f32 v141, v40, 0xbf59a7d5, v157
	v_mul_f32_e32 v158, 0x3f65296c, v118
	v_add_f32_e32 v19, v19, v140
	v_fmamk_f32 v140, v29, 0xbf4c4adb, v144
	v_mul_f32_e32 v143, 0x3f6eb680, v74
	v_add_f32_e32 v8, v16, v177
	v_add_f32_e32 v15, v156, v160
	;; [unrolled: 1-line block ×4, first 2 shown]
	v_fmamk_f32 v155, v39, 0x3ee437d1, v158
	v_add_f32_e32 v19, v19, v140
	v_fmamk_f32 v156, v28, 0x3eb8f4ab, v143
	v_mul_f32_e32 v140, 0xbf7ba420, v73
	v_mul_f32_e32 v154, 0xbf7ee86f, v117
	v_add_f32_e32 v160, v141, v155
	v_mul_f32_e32 v141, 0x3f3d2fb0, v71
	v_add_f32_e32 v163, v19, v156
	v_fmamk_f32 v164, v27, 0x3e3c28d5, v140
	v_fmac_f32_e32 v159, 0x3dbcf732, v33
	v_fmamk_f32 v162, v38, 0x3dbcf732, v154
	v_mul_f32_e32 v155, 0x3f4c4adb, v24
	v_add_f32_e32 v19, v161, v153
	v_add_f32_e32 v161, v163, v164
	v_fmamk_f32 v163, v26, 0xbf2c7751, v141
	v_add_f32_e32 v57, v5, v57
	v_add_f32_e32 v160, v160, v162
	v_fmamk_f32 v162, v37, 0xbf1a4643, v155
	v_mul_f32_e32 v156, 0xbeb8f4ab, v110
	v_add_f32_e32 v18, v18, v159
	v_add_f32_e32 v159, v161, v163
	v_fma_f32 v161, 0xbf1a4643, v78, -v150
	v_add_f32_e32 v56, v57, v56
	v_add_f32_e32 v160, v160, v162
	v_fmamk_f32 v162, v36, 0x3f6eb680, v156
	v_mul_f32_e32 v153, 0xbe3c28d5, v108
	v_fmac_f32_e32 v149, 0xbf1a4643, v40
	v_add_f32_e32 v161, v7, v161
	v_fma_f32 v20, 0xbe8c1d8e, v79, -v20
	v_add_f32_e32 v76, v76, v7
	v_add_f32_e32 v55, v56, v55
	;; [unrolled: 1-line block ×3, first 2 shown]
	v_fmamk_f32 v162, v35, 0xbf7ba420, v153
	v_mul_f32_e32 v150, 0x3f2c7751, v105
	v_add_f32_e32 v163, v5, v149
	v_fmac_f32_e32 v146, 0xbe8c1d8e, v39
	v_add_f32_e32 v20, v161, v20
	v_fma_f32 v152, 0x3f6eb680, v77, -v152
	v_add_f32_e32 v72, v76, v72
	v_add_f32_e32 v54, v55, v54
	;; [unrolled: 1-line block ×3, first 2 shown]
	v_fmamk_f32 v162, v34, 0x3f3d2fb0, v150
	v_add_f32_e32 v161, v163, v146
	v_fmac_f32_e32 v21, 0x3f6eb680, v38
	v_add_f32_e32 v20, v20, v152
	v_fma_f32 v151, 0xbf59a7d5, v75, -v151
	v_mul_f32_e32 v146, 0xbf763a35, v102
	v_fma_f32 v57, 0x3f6eb680, v78, -v95
	v_add_f32_e32 v70, v72, v70
	v_add_f32_e32 v53, v54, v53
	;; [unrolled: 1-line block ×4, first 2 shown]
	v_fmac_f32_e32 v145, 0xbf59a7d5, v37
	v_add_f32_e32 v20, v20, v151
	v_fma_f32 v148, 0x3dbcf732, v74, -v148
	v_fmamk_f32 v151, v33, 0xbe8c1d8e, v146
	v_fma_f32 v76, 0x3f3d2fb0, v79, -v93
	v_add_f32_e32 v56, v7, v57
	v_add_f32_e32 v69, v70, v69
	;; [unrolled: 1-line block ×3, first 2 shown]
	v_mul_f32_e32 v149, 0xbe8c1d8e, v64
	v_add_f32_e32 v145, v161, v145
	v_fmac_f32_e32 v139, 0x3dbcf732, v36
	v_add_f32_e32 v148, v20, v148
	v_fma_f32 v147, 0x3f3d2fb0, v73, -v147
	v_add_f32_e32 v20, v160, v151
	v_mul_f32_e32 v151, 0xbe8c1d8e, v78
	v_fmac_f32_e32 v94, 0x3f6eb680, v40
	v_add_f32_e32 v55, v56, v76
	v_fma_f32 v56, 0x3ee437d1, v77, -v89
	v_add_f32_e32 v68, v69, v68
	v_add_f32_e32 v50, v52, v50
	v_fmamk_f32 v152, v6, 0x3f763a35, v149
	v_add_f32_e32 v139, v145, v139
	v_fmac_f32_e32 v25, 0x3f3d2fb0, v35
	v_add_f32_e32 v145, v148, v147
	v_fma_f32 v142, 0xbf7ba420, v71, -v142
	v_fmamk_f32 v147, v41, 0x3f763a35, v151
	v_mul_f32_e32 v148, 0xbf59a7d5, v79
	v_add_f32_e32 v57, v5, v94
	v_fmac_f32_e32 v92, 0x3f3d2fb0, v39
	v_add_f32_e32 v54, v55, v56
	v_fma_f32 v55, 0x3dbcf732, v75, -v85
	v_add_f32_e32 v56, v68, v67
	v_add_f32_e32 v50, v50, v59
	;; [unrolled: 1-line block ×4, first 2 shown]
	v_fmac_f32_e32 v23, 0xbf7ba420, v34
	v_add_f32_e32 v139, v145, v142
	v_add_f32_e32 v142, v7, v147
	v_fmamk_f32 v145, v31, 0xbf06c442, v148
	v_mul_f32_e32 v152, 0x3f3d2fb0, v77
	v_mul_f32_e32 v159, 0xbf763a35, v119
	v_add_f32_e32 v57, v57, v92
	v_fmac_f32_e32 v91, 0x3ee437d1, v38
	v_add_f32_e32 v54, v54, v55
	v_add_f32_e32 v55, v56, v66
	;; [unrolled: 1-line block ×3, first 2 shown]
	v_mul_f32_e32 v22, 0x3f65296c, v102
	v_add_f32_e32 v25, v25, v23
	v_fma_f32 v23, 0x3ee437d1, v64, -v138
	v_add_f32_e32 v142, v142, v145
	v_fmamk_f32 v145, v30, 0xbf2c7751, v152
	v_mul_f32_e32 v160, 0x3ee437d1, v75
	v_fmamk_f32 v147, v40, 0xbe8c1d8e, v159
	v_mul_f32_e32 v138, 0x3f06c442, v118
	v_add_f32_e32 v53, v57, v91
	v_fmac_f32_e32 v88, 0x3dbcf732, v37
	v_add_f32_e32 v55, v55, v65
	v_add_f32_e32 v49, v49, v50
	v_fma_f32 v165, 0x3ee437d1, v33, -v22
	v_add_f32_e32 v145, v142, v145
	v_fmamk_f32 v161, v29, 0x3f65296c, v160
	v_mul_f32_e32 v162, 0xbf7ba420, v74
	v_add_f32_e32 v147, v5, v147
	v_fmamk_f32 v163, v39, 0xbf59a7d5, v138
	v_mul_f32_e32 v142, 0x3f2c7751, v117
	v_add_f32_e32 v53, v53, v88
	v_fmac_f32_e32 v87, 0xbe8c1d8e, v36
	v_add_f32_e32 v55, v55, v63
	v_add_f32_e32 v48, v48, v49
	;; [unrolled: 1-line block ×4, first 2 shown]
	v_fmamk_f32 v164, v28, 0x3e3c28d5, v162
	v_mul_f32_e32 v165, 0x3dbcf732, v73
	v_add_f32_e32 v147, v147, v163
	v_fmamk_f32 v163, v38, 0x3f3d2fb0, v142
	v_mul_f32_e32 v145, 0xbf65296c, v24
	v_add_f32_e32 v53, v53, v87
	v_fmac_f32_e32 v86, 0xbf1a4643, v35
	v_add_f32_e32 v55, v62, v55
	v_add_f32_e32 v46, v46, v48
	;; [unrolled: 1-line block ×3, first 2 shown]
	v_fmamk_f32 v164, v27, 0xbf7ee86f, v165
	v_mul_f32_e32 v166, 0x3f6eb680, v71
	v_add_f32_e32 v163, v147, v163
	v_fmamk_f32 v167, v37, 0x3ee437d1, v145
	v_mul_f32_e32 v147, 0xbe3c28d5, v110
	v_add_f32_e32 v50, v53, v86
	v_fmac_f32_e32 v84, 0xbf59a7d5, v34
	v_add_f32_e32 v53, v61, v55
	v_add_f32_e32 v44, v44, v46
	v_fma_f32 v46, 0xbf59a7d5, v40, -v157
	v_fmac_f32_e32 v22, 0x3ee437d1, v33
	v_add_f32_e32 v23, v139, v23
	v_add_f32_e32 v139, v161, v164
	v_fmamk_f32 v161, v26, 0x3eb8f4ab, v166
	v_add_f32_e32 v163, v163, v167
	v_fmamk_f32 v164, v36, 0xbf7ba420, v147
	v_mul_f32_e32 v167, 0x3dbcf732, v78
	v_add_f32_e32 v50, v50, v84
	v_fmac_f32_e32 v83, 0xbf7ba420, v33
	v_add_f32_e32 v53, v60, v53
	v_add_f32_e32 v43, v43, v44
	;; [unrolled: 1-line block ×3, first 2 shown]
	v_fma_f32 v46, 0x3ee437d1, v39, -v158
	v_add_f32_e32 v22, v25, v22
	v_mul_f32_e32 v168, 0x3f7ee86f, v108
	v_add_f32_e32 v25, v139, v161
	v_add_f32_e32 v161, v163, v164
	v_fmamk_f32 v163, v41, 0x3f7ee86f, v167
	v_mul_f32_e32 v164, 0xbf7ba420, v79
	v_add_f32_e32 v48, v50, v83
	v_add_f32_e32 v50, v51, v53
	v_add_f32_e32 v44, v44, v46
	v_fma_f32 v46, 0x3dbcf732, v38, -v154
	v_fmamk_f32 v169, v35, 0x3dbcf732, v168
	v_mul_f32_e32 v170, 0xbeb8f4ab, v105
	v_add_f32_e32 v163, v7, v163
	v_fmamk_f32 v171, v31, 0x3e3c28d5, v164
	v_mul_f32_e32 v172, 0xbe8c1d8e, v77
	v_add_f32_e32 v47, v47, v50
	v_add_f32_e32 v44, v44, v46
	v_fma_f32 v46, 0xbf1a4643, v37, -v155
	v_mul_f32_e32 v139, 0xbf1a4643, v64
	v_add_f32_e32 v161, v161, v169
	v_fmamk_f32 v169, v34, 0x3f6eb680, v170
	v_add_f32_e32 v163, v163, v171
	v_fmamk_f32 v171, v30, 0xbf763a35, v172
	v_mul_f32_e32 v174, 0x3f6eb680, v75
	v_add_f32_e32 v45, v45, v47
	v_add_f32_e32 v44, v44, v46
	v_fma_f32 v46, 0x3f6eb680, v36, -v156
	v_fmamk_f32 v173, v6, 0x3f4c4adb, v139
	v_add_f32_e32 v161, v161, v169
	v_add_f32_e32 v163, v163, v171
	v_fmamk_f32 v169, v29, 0xbeb8f4ab, v174
	v_mul_f32_e32 v171, 0x3ee437d1, v74
	v_add_f32_e32 v32, v32, v43
	v_add_f32_e32 v44, v44, v46
	;; [unrolled: 1-line block ×3, first 2 shown]
	v_fma_f32 v42, 0xbf7ba420, v35, -v153
	v_add_f32_e32 v25, v25, v173
	v_mul_f32_e32 v173, 0xbf4c4adb, v102
	v_mul_f32_e32 v176, 0xbe3c28d5, v118
	v_add_f32_e32 v118, v163, v169
	v_fmamk_f32 v163, v28, 0x3f65296c, v171
	v_mul_f32_e32 v169, 0xbf59a7d5, v73
	v_fmac_f32_e32 v136, 0xbf06c442, v41
	v_mul_f32_e32 v119, 0xbf7ee86f, v119
	v_add_f32_e32 v42, v44, v42
	v_fma_f32 v44, 0x3f3d2fb0, v34, -v150
	v_mul_f32_e32 v178, 0x3f763a35, v117
	v_fmamk_f32 v117, v33, 0xbf1a4643, v173
	v_add_f32_e32 v118, v118, v163
	v_fmamk_f32 v163, v27, 0x3f06c442, v169
	v_add_f32_e32 v51, v7, v136
	v_fmac_f32_e32 v135, 0x3f65296c, v31
	v_fmamk_f32 v175, v40, 0x3dbcf732, v119
	v_fmac_f32_e32 v127, 0x3ee437d1, v40
	v_fmac_f32_e32 v116, 0x3f3d2fb0, v40
	v_add_f32_e32 v44, v42, v44
	v_add_f32_e32 v42, v4, v32
	v_fma_f32 v4, 0xbe8c1d8e, v40, -v159
	v_fma_f32 v40, 0x3dbcf732, v40, -v119
	v_mul_f32_e32 v179, 0x3eb8f4ab, v24
	v_add_f32_e32 v24, v161, v117
	v_add_f32_e32 v117, v118, v163
	v_fma_f32 v118, 0x3ee437d1, v78, -v130
	v_fma_f32 v113, 0x3f3d2fb0, v78, -v113
	v_add_f32_e32 v50, v51, v135
	v_fmac_f32_e32 v137, 0xbf7ee86f, v30
	v_fmac_f32_e32 v151, 0xbf763a35, v41
	;; [unrolled: 1-line block ×3, first 2 shown]
	v_add_f32_e32 v175, v5, v175
	v_fmamk_f32 v177, v39, 0xbf7ba420, v176
	v_add_f32_e32 v127, v5, v127
	v_add_f32_e32 v116, v5, v116
	v_fmac_f32_e32 v148, 0x3f06c442, v31
	v_add_f32_e32 v4, v5, v4
	v_fma_f32 v41, 0xbf59a7d5, v39, -v138
	v_fmac_f32_e32 v164, 0xbe3c28d5, v31
	v_add_f32_e32 v5, v5, v40
	v_fma_f32 v31, 0xbf7ba420, v39, -v176
	v_add_f32_e32 v118, v7, v118
	v_add_f32_e32 v113, v7, v113
	v_fma_f32 v97, 0x3dbcf732, v79, -v97
	v_fmac_f32_e32 v107, 0x3dbcf732, v39
	v_add_f32_e32 v47, v50, v137
	v_add_f32_e32 v50, v7, v151
	;; [unrolled: 1-line block ×3, first 2 shown]
	v_fma_f32 v129, 0xbf1a4643, v79, -v129
	v_fmac_f32_e32 v126, 0xbf1a4643, v39
	v_add_f32_e32 v175, v175, v177
	v_fmamk_f32 v177, v38, 0xbe8c1d8e, v178
	v_fmac_f32_e32 v152, 0x3f2c7751, v30
	v_add_f32_e32 v4, v4, v41
	v_fma_f32 v39, 0x3f3d2fb0, v38, -v142
	v_fmac_f32_e32 v172, 0x3f763a35, v30
	v_add_f32_e32 v5, v5, v31
	v_fma_f32 v30, 0xbe8c1d8e, v38, -v178
	v_add_f32_e32 v97, v113, v97
	v_fma_f32 v113, 0xbf1a4643, v77, -v115
	v_add_f32_e32 v107, v116, v107
	v_fmac_f32_e32 v104, 0xbf1a4643, v38
	v_add_f32_e32 v7, v7, v164
	v_add_f32_e32 v118, v118, v129
	v_fma_f32 v129, 0xbf7ba420, v77, -v132
	v_add_f32_e32 v126, v127, v126
	v_fmac_f32_e32 v125, 0xbf7ba420, v38
	v_add_f32_e32 v130, v175, v177
	v_fmamk_f32 v161, v37, 0x3f6eb680, v179
	v_mul_f32_e32 v110, 0xbf65296c, v110
	v_fmac_f32_e32 v144, 0x3f4c4adb, v29
	v_fmac_f32_e32 v160, 0xbf65296c, v29
	v_add_f32_e32 v4, v4, v39
	v_fma_f32 v31, 0x3ee437d1, v37, -v145
	v_fmac_f32_e32 v174, 0x3eb8f4ab, v29
	v_add_f32_e32 v5, v5, v30
	v_fma_f32 v29, 0x3f6eb680, v37, -v179
	v_add_f32_e32 v97, v97, v113
	v_fma_f32 v113, 0xbf7ba420, v75, -v114
	v_add_f32_e32 v104, v107, v104
	v_fmac_f32_e32 v103, 0xbf7ba420, v37
	v_add_f32_e32 v7, v7, v172
	v_add_f32_e32 v118, v118, v129
	v_fma_f32 v129, 0xbe8c1d8e, v75, -v133
	v_add_f32_e32 v125, v126, v125
	v_fmac_f32_e32 v124, 0xbe8c1d8e, v37
	v_add_f32_e32 v130, v130, v161
	v_fmamk_f32 v161, v36, 0x3ee437d1, v110
	v_mul_f32_e32 v108, 0xbf06c442, v108
	v_fmac_f32_e32 v143, 0xbeb8f4ab, v28
	v_fmac_f32_e32 v162, 0xbe3c28d5, v28
	v_add_f32_e32 v4, v4, v31
	v_fma_f32 v30, 0xbf7ba420, v36, -v147
	v_fmac_f32_e32 v171, 0xbf65296c, v28
	v_add_f32_e32 v5, v5, v29
	v_fma_f32 v28, 0x3ee437d1, v36, -v110
	v_fma_f32 v52, 0xbe8c1d8e, v74, -v82
	v_add_f32_e32 v97, v97, v113
	v_fma_f32 v111, 0xbf59a7d5, v74, -v111
	v_add_f32_e32 v103, v104, v103
	v_fmac_f32_e32 v101, 0xbf59a7d5, v36
	v_add_f32_e32 v7, v7, v174
	v_add_f32_e32 v118, v118, v129
	v_fma_f32 v129, 0x3f3d2fb0, v74, -v134
	v_add_f32_e32 v115, v125, v124
	v_fmac_f32_e32 v123, 0x3f3d2fb0, v36
	v_mul_f32_e32 v163, 0xbf1a4643, v71
	v_add_f32_e32 v130, v130, v161
	v_fmamk_f32 v132, v35, 0xbf59a7d5, v108
	v_mul_f32_e32 v105, 0x3f4c4adb, v105
	v_fmac_f32_e32 v140, 0xbe3c28d5, v27
	v_fmac_f32_e32 v165, 0x3f7ee86f, v27
	v_add_f32_e32 v4, v4, v30
	v_fma_f32 v29, 0x3dbcf732, v35, -v168
	v_fmac_f32_e32 v169, 0xbf06c442, v27
	v_add_f32_e32 v5, v5, v28
	v_fma_f32 v27, 0xbf59a7d5, v35, -v108
	v_add_f32_e32 v52, v54, v52
	v_fma_f32 v54, 0xbf1a4643, v73, -v81
	v_add_f32_e32 v50, v50, v148
	v_add_f32_e32 v97, v97, v111
	v_fma_f32 v109, 0xbe8c1d8e, v73, -v109
	v_add_f32_e32 v101, v103, v101
	v_fmac_f32_e32 v99, 0xbe8c1d8e, v35
	v_add_f32_e32 v7, v7, v171
	v_add_f32_e32 v129, v118, v129
	v_fma_f32 v131, 0x3f6eb680, v73, -v131
	v_add_f32_e32 v107, v115, v123
	v_fmac_f32_e32 v121, 0x3f6eb680, v35
	v_fmamk_f32 v175, v26, 0xbf4c4adb, v163
	v_add_f32_e32 v130, v130, v132
	v_fmamk_f32 v132, v34, 0xbf1a4643, v105
	v_mul_f32_e32 v133, 0x3f3d2fb0, v64
	v_mul_f32_e32 v102, 0x3f2c7751, v102
	v_fmac_f32_e32 v141, 0x3f2c7751, v26
	v_fmac_f32_e32 v166, 0xbeb8f4ab, v26
	v_add_f32_e32 v4, v4, v29
	v_fma_f32 v28, 0x3f6eb680, v34, -v170
	v_fmac_f32_e32 v163, 0x3f4c4adb, v26
	v_add_f32_e32 v5, v5, v27
	v_fma_f32 v26, 0xbf1a4643, v34, -v105
	v_add_f32_e32 v52, v52, v54
	v_fma_f32 v54, 0xbf59a7d5, v71, -v80
	v_add_f32_e32 v50, v50, v152
	v_add_f32_e32 v97, v97, v109
	v_fma_f32 v106, 0x3ee437d1, v71, -v106
	v_add_f32_e32 v101, v101, v99
	v_fmac_f32_e32 v98, 0x3ee437d1, v34
	v_add_f32_e32 v7, v7, v169
	v_add_f32_e32 v129, v129, v131
	v_fma_f32 v128, 0x3dbcf732, v71, -v128
	v_add_f32_e32 v107, v107, v121
	v_fmac_f32_e32 v120, 0x3dbcf732, v34
	v_add_f32_e32 v47, v47, v144
	v_add_f32_e32 v130, v130, v132
	v_fmamk_f32 v132, v6, 0xbf2c7751, v133
	v_fmac_f32_e32 v149, 0xbf763a35, v6
	v_fmac_f32_e32 v139, 0xbf4c4adb, v6
	v_add_f32_e32 v4, v4, v28
	v_fma_f32 v27, 0xbf1a4643, v33, -v173
	v_fmac_f32_e32 v133, 0x3f2c7751, v6
	v_add_f32_e32 v6, v5, v26
	v_fma_f32 v26, 0x3f3d2fb0, v33, -v102
	v_add_f32_e32 v52, v52, v54
	v_fma_f32 v49, 0xbf7ba420, v64, -v90
	v_add_f32_e32 v45, v50, v160
	v_add_f32_e32 v97, v97, v106
	;; [unrolled: 1-line block ×3, first 2 shown]
	v_fma_f32 v100, 0x3f6eb680, v64, -v100
	v_fmac_f32_e32 v96, 0x3f6eb680, v33
	v_add_f32_e32 v7, v7, v163
	v_add_f32_e32 v104, v129, v128
	v_fma_f32 v103, 0xbf59a7d5, v64, -v122
	v_add_f32_e32 v107, v107, v120
	v_fmac_f32_e32 v112, 0xbf59a7d5, v33
	v_add_f32_e32 v47, v47, v143
	v_add_f32_e32 v117, v117, v175
	v_fmamk_f32 v134, v33, 0x3f3d2fb0, v102
	v_add_f32_e32 v2, v4, v27
	v_add_f32_e32 v4, v6, v26
	v_add_co_u32 v6, vcc_lo, 0x800, v0
	v_add_f32_e32 v49, v52, v49
	v_add_f32_e32 v45, v45, v162
	;; [unrolled: 1-line block ×5, first 2 shown]
	v_add_co_ci_u32_e32 v7, vcc_lo, 0, v1, vcc_lo
	v_add_f32_e32 v99, v104, v103
	v_add_f32_e32 v98, v107, v112
	v_add_f32_e32 v46, v47, v140
	v_add_co_u32 v26, vcc_lo, 0x1000, v0
	v_add_f32_e32 v118, v117, v132
	v_add_f32_e32 v117, v130, v134
	v_add_co_ci_u32_e32 v27, vcc_lo, 0, v1, vcc_lo
	v_add_f32_e32 v50, v45, v165
	global_store_dwordx2 v[0:1], v[42:43], off
	global_store_dwordx2 v[0:1], v[48:49], off offset:952
	global_store_dwordx2 v[0:1], v[96:97], off offset:1904
	;; [unrolled: 1-line block ×6, first 2 shown]
	v_add_co_u32 v6, vcc_lo, 0x1800, v0
	v_add_f32_e32 v46, v46, v141
	v_fma_f32 v47, 0xbe8c1d8e, v33, -v146
	v_add_co_ci_u32_e32 v7, vcc_lo, 0, v1, vcc_lo
	v_add_co_u32 v22, vcc_lo, 0x2000, v0
	v_add_f32_e32 v32, v50, v166
	v_add_co_ci_u32_e32 v23, vcc_lo, 0, v1, vcc_lo
	v_add_co_u32 v24, vcc_lo, 0x2800, v0
	v_add_f32_e32 v45, v46, v149
	v_add_f32_e32 v44, v44, v47
	v_add_co_ci_u32_e32 v25, vcc_lo, 0, v1, vcc_lo
	global_store_dwordx2 v[6:7], v[20:21], off offset:520
	global_store_dwordx2 v[6:7], v[18:19], off offset:1472
	global_store_dwordx2 v[22:23], v[16:17], off offset:376
	global_store_dwordx2 v[22:23], v[44:45], off offset:1328
	global_store_dwordx2 v[24:25], v[14:15], off offset:232
	v_add_co_u32 v6, vcc_lo, 0x3000, v0
	v_add_f32_e32 v3, v32, v139
	v_add_co_ci_u32_e32 v7, vcc_lo, 0, v1, vcc_lo
	v_add_co_u32 v0, vcc_lo, 0x3800, v0
	v_add_co_ci_u32_e32 v1, vcc_lo, 0, v1, vcc_lo
	global_store_dwordx2 v[24:25], v[2:3], off offset:1184
	global_store_dwordx2 v[6:7], v[4:5], off offset:88
	;; [unrolled: 1-line block ×5, first 2 shown]
.LBB0_21:
	s_endpgm
	.section	.rodata,"a",@progbits
	.p2align	6, 0x0
	.amdhsa_kernel fft_rtc_back_len2023_factors_17_7_17_wgs_119_tpt_119_halfLds_sp_ip_CI_unitstride_sbrr_dirReg
		.amdhsa_group_segment_fixed_size 0
		.amdhsa_private_segment_fixed_size 0
		.amdhsa_kernarg_size 88
		.amdhsa_user_sgpr_count 6
		.amdhsa_user_sgpr_private_segment_buffer 1
		.amdhsa_user_sgpr_dispatch_ptr 0
		.amdhsa_user_sgpr_queue_ptr 0
		.amdhsa_user_sgpr_kernarg_segment_ptr 1
		.amdhsa_user_sgpr_dispatch_id 0
		.amdhsa_user_sgpr_flat_scratch_init 0
		.amdhsa_user_sgpr_private_segment_size 0
		.amdhsa_wavefront_size32 1
		.amdhsa_uses_dynamic_stack 0
		.amdhsa_system_sgpr_private_segment_wavefront_offset 0
		.amdhsa_system_sgpr_workgroup_id_x 1
		.amdhsa_system_sgpr_workgroup_id_y 0
		.amdhsa_system_sgpr_workgroup_id_z 0
		.amdhsa_system_sgpr_workgroup_info 0
		.amdhsa_system_vgpr_workitem_id 0
		.amdhsa_next_free_vgpr 187
		.amdhsa_next_free_sgpr 21
		.amdhsa_reserve_vcc 1
		.amdhsa_reserve_flat_scratch 0
		.amdhsa_float_round_mode_32 0
		.amdhsa_float_round_mode_16_64 0
		.amdhsa_float_denorm_mode_32 3
		.amdhsa_float_denorm_mode_16_64 3
		.amdhsa_dx10_clamp 1
		.amdhsa_ieee_mode 1
		.amdhsa_fp16_overflow 0
		.amdhsa_workgroup_processor_mode 1
		.amdhsa_memory_ordered 1
		.amdhsa_forward_progress 0
		.amdhsa_shared_vgpr_count 0
		.amdhsa_exception_fp_ieee_invalid_op 0
		.amdhsa_exception_fp_denorm_src 0
		.amdhsa_exception_fp_ieee_div_zero 0
		.amdhsa_exception_fp_ieee_overflow 0
		.amdhsa_exception_fp_ieee_underflow 0
		.amdhsa_exception_fp_ieee_inexact 0
		.amdhsa_exception_int_div_zero 0
	.end_amdhsa_kernel
	.text
.Lfunc_end0:
	.size	fft_rtc_back_len2023_factors_17_7_17_wgs_119_tpt_119_halfLds_sp_ip_CI_unitstride_sbrr_dirReg, .Lfunc_end0-fft_rtc_back_len2023_factors_17_7_17_wgs_119_tpt_119_halfLds_sp_ip_CI_unitstride_sbrr_dirReg
                                        ; -- End function
	.section	.AMDGPU.csdata,"",@progbits
; Kernel info:
; codeLenInByte = 15096
; NumSgprs: 23
; NumVgprs: 187
; ScratchSize: 0
; MemoryBound: 0
; FloatMode: 240
; IeeeMode: 1
; LDSByteSize: 0 bytes/workgroup (compile time only)
; SGPRBlocks: 2
; VGPRBlocks: 23
; NumSGPRsForWavesPerEU: 23
; NumVGPRsForWavesPerEU: 187
; Occupancy: 5
; WaveLimiterHint : 1
; COMPUTE_PGM_RSRC2:SCRATCH_EN: 0
; COMPUTE_PGM_RSRC2:USER_SGPR: 6
; COMPUTE_PGM_RSRC2:TRAP_HANDLER: 0
; COMPUTE_PGM_RSRC2:TGID_X_EN: 1
; COMPUTE_PGM_RSRC2:TGID_Y_EN: 0
; COMPUTE_PGM_RSRC2:TGID_Z_EN: 0
; COMPUTE_PGM_RSRC2:TIDIG_COMP_CNT: 0
	.text
	.p2alignl 6, 3214868480
	.fill 48, 4, 3214868480
	.type	__hip_cuid_de757be69587abe1,@object ; @__hip_cuid_de757be69587abe1
	.section	.bss,"aw",@nobits
	.globl	__hip_cuid_de757be69587abe1
__hip_cuid_de757be69587abe1:
	.byte	0                               ; 0x0
	.size	__hip_cuid_de757be69587abe1, 1

	.ident	"AMD clang version 19.0.0git (https://github.com/RadeonOpenCompute/llvm-project roc-6.4.0 25133 c7fe45cf4b819c5991fe208aaa96edf142730f1d)"
	.section	".note.GNU-stack","",@progbits
	.addrsig
	.addrsig_sym __hip_cuid_de757be69587abe1
	.amdgpu_metadata
---
amdhsa.kernels:
  - .args:
      - .actual_access:  read_only
        .address_space:  global
        .offset:         0
        .size:           8
        .value_kind:     global_buffer
      - .offset:         8
        .size:           8
        .value_kind:     by_value
      - .actual_access:  read_only
        .address_space:  global
        .offset:         16
        .size:           8
        .value_kind:     global_buffer
      - .actual_access:  read_only
        .address_space:  global
        .offset:         24
        .size:           8
        .value_kind:     global_buffer
      - .offset:         32
        .size:           8
        .value_kind:     by_value
      - .actual_access:  read_only
        .address_space:  global
        .offset:         40
        .size:           8
        .value_kind:     global_buffer
      - .actual_access:  read_only
        .address_space:  global
        .offset:         48
        .size:           8
        .value_kind:     global_buffer
      - .offset:         56
        .size:           4
        .value_kind:     by_value
      - .actual_access:  read_only
        .address_space:  global
        .offset:         64
        .size:           8
        .value_kind:     global_buffer
      - .actual_access:  read_only
        .address_space:  global
        .offset:         72
        .size:           8
        .value_kind:     global_buffer
      - .address_space:  global
        .offset:         80
        .size:           8
        .value_kind:     global_buffer
    .group_segment_fixed_size: 0
    .kernarg_segment_align: 8
    .kernarg_segment_size: 88
    .language:       OpenCL C
    .language_version:
      - 2
      - 0
    .max_flat_workgroup_size: 119
    .name:           fft_rtc_back_len2023_factors_17_7_17_wgs_119_tpt_119_halfLds_sp_ip_CI_unitstride_sbrr_dirReg
    .private_segment_fixed_size: 0
    .sgpr_count:     23
    .sgpr_spill_count: 0
    .symbol:         fft_rtc_back_len2023_factors_17_7_17_wgs_119_tpt_119_halfLds_sp_ip_CI_unitstride_sbrr_dirReg.kd
    .uniform_work_group_size: 1
    .uses_dynamic_stack: false
    .vgpr_count:     187
    .vgpr_spill_count: 0
    .wavefront_size: 32
    .workgroup_processor_mode: 1
amdhsa.target:   amdgcn-amd-amdhsa--gfx1030
amdhsa.version:
  - 1
  - 2
...

	.end_amdgpu_metadata
